;; amdgpu-corpus repo=ROCm/aiter kind=harvested arch=n/a opt=n/a

/root/src/amdgpu-assembly/repos/ROCm__aiter/hsa/gfx950/fmoe_2stages/fmoe_stage1_bf16_pertokenFp8_g1u1_64x128_2tg_pf2.co:	file format elf64-amdgpu

Disassembly of section .text:

0000000000002a00 <_ZN5aiter48fmoe_stage1_bf16_pertokenFp8_g1u1_64x128_2tg_pf2E>:
	s_and_b32 s1, s1, 0xffff                                   // 000000002A00: 8601FF01 0000FFFF
	s_load_dwordx2 s[8:9], s[0:1], 0x0                         // 000000002A08: C0060200 00000000
	s_load_dwordx2 s[20:21], s[0:1], 0x10                      // 000000002A10: C0060500 00000010
	s_load_dwordx2 s[24:25], s[0:1], 0x20                      // 000000002A18: C0060600 00000020
	s_load_dwordx2 s[48:49], s[0:1], 0x30                      // 000000002A20: C0060C00 00000030
	s_load_dwordx2 s[28:29], s[0:1], 0x40                      // 000000002A28: C0060700 00000040
	s_load_dwordx2 s[32:33], s[0:1], 0x50                      // 000000002A30: C0060800 00000050
	s_load_dwordx2 s[36:37], s[0:1], 0x60                      // 000000002A38: C0060900 00000060
	s_load_dwordx2 s[12:13], s[0:1], 0x70                      // 000000002A40: C0060300 00000070
	s_load_dwordx2 s[44:45], s[0:1], 0x80                      // 000000002A48: C0060B00 00000080
	s_mov_b32 s89, 0                                           // 000000002A50: BED90080
	s_load_dword s64, s[0:1], 0x90                             // 000000002A54: C0021000 00000090
	s_load_dword s65, s[0:1], 0xa0                             // 000000002A5C: C0021040 000000A0
	s_load_dword s66, s[0:1], 0xb0                             // 000000002A64: C0021080 000000B0
	s_load_dword s67, s[0:1], 0xc0                             // 000000002A6C: C00210C0 000000C0
	s_load_dword s68, s[0:1], 0xd0                             // 000000002A74: C0021100 000000D0
	s_load_dword s69, s[0:1], 0xe0                             // 000000002A7C: C0021140 000000E0
	s_load_dword s71, s[0:1], 0xf0                             // 000000002A84: C00211C0 000000F0
	s_load_dword s72, s[0:1], 0x100                            // 000000002A8C: C0021200 00000100
	s_load_dword s74, s[0:1], 0x110                            // 000000002A94: C0021280 00000110
	s_load_dword s76, s[0:1], 0x120                            // 000000002A9C: C0021300 00000120
	s_load_dword s56, s[0:1], 0x130                            // 000000002AA4: C0020E00 00000130
	s_load_dword s88, s[0:1], 0x140                            // 000000002AAC: C0021600 00000140
	s_load_dword s89, s[0:1], 0x150                            // 000000002AB4: C0021640 00000150
	v_lshrrev_b32_e32 v1, 10, v0                               // 000000002ABC: 2002008A
	v_lshrrev_b32_e32 v2, 10, v1                               // 000000002AC0: 2004028A
	v_and_b32_e32 v2, 0x3ff, v2                                // 000000002AC4: 260404FF 000003FF
	v_and_b32_e32 v1, 0x3ff, v1                                // 000000002ACC: 260202FF 000003FF
	v_and_b32_e32 v0, 0x3ff, v0                                // 000000002AD4: 260000FF 000003FF
	v_lshrrev_b32_e32 v3, 6, v0                                // 000000002ADC: 20060086
	v_and_b32_e32 v0, 63, v0                                   // 000000002AE0: 260000BF
	s_mov_b32 s2, s2                                           // 000000002AE4: BE820002
	s_mov_b32 s3, s3                                           // 000000002AE8: BE830003
	s_mov_b32 s4, s4                                           // 000000002AEC: BE840004
	v_readfirstlane_b32 s7, v3                                 // 000000002AF0: 7E0E0503
	s_waitcnt lgkmcnt(0)                                       // 000000002AF4: BF8CC07F
	s_and_b32 s49, s49, 0xffff                                 // 000000002AF8: 8631FF31 0000FFFF
	s_load_dword s48, s[48:49], 0x0                            // 000000002B00: C0020C18 00000000
	s_and_b32 s45, s45, 0xffff                                 // 000000002B08: 862DFF2D 0000FFFF
	s_and_b32 s9, s9, 0xffff                                   // 000000002B10: 8609FF09 0000FFFF
	s_mul_i32 s60, s66, s68                                    // 000000002B18: 923C4442
	s_mul_i32 s61, s66, 4                                      // 000000002B1C: 923D8442
	s_mov_b32 s22, s60                                         // 000000002B20: BE96003C
	s_mov_b32 s26, -16                                         // 000000002B24: BE9A00D0
	s_mov_b32 s30, s61                                         // 000000002B28: BE9E003D
	s_mov_b32 s14, 0x100                                       // 000000002B2C: BE8E00FF 00000100
	s_mov_b32 s38, -16                                         // 000000002B34: BEA600D0
	s_mov_b32 s10, -16                                         // 000000002B38: BE8A00D0
	s_mov_b32 s34, 0x200                                       // 000000002B3C: BEA200FF 00000200
	s_mov_b32 s23, 0x20000                                     // 000000002B44: BE9700FF 00020000
	s_mov_b32 s27, 0x20000                                     // 000000002B4C: BE9B00FF 00020000
	s_mov_b32 s31, 0x20000                                     // 000000002B54: BE9F00FF 00020000
	s_mov_b32 s35, 0x20000                                     // 000000002B5C: BEA300FF 00020000
	s_mov_b32 s15, 0x20000                                     // 000000002B64: BE8F00FF 00020000
	s_mov_b32 s39, 0x20000                                     // 000000002B6C: BEA700FF 00020000
	s_mov_b32 s11, 0x20000                                     // 000000002B74: BE8B00FF 00020000
	s_and_b32 s21, s21, 0xffff                                 // 000000002B7C: 8615FF15 0000FFFF
	s_and_b32 s25, s25, 0xffff                                 // 000000002B84: 8619FF19 0000FFFF
	s_and_b32 s29, s29, 0xffff                                 // 000000002B8C: 861DFF1D 0000FFFF
	s_and_b32 s33, s33, 0xffff                                 // 000000002B94: 8621FF21 0000FFFF
	s_and_b32 s13, s13, 0xffff                                 // 000000002B9C: 860DFF0D 0000FFFF
	s_and_b32 s37, s37, 0xffff                                 // 000000002BA4: 8625FF25 0000FFFF
	s_or_b32 s21, s21, 0x40000                                 // 000000002BAC: 8715FF15 00040000
	s_or_b32 s25, s25, 0x40000                                 // 000000002BB4: 8719FF19 00040000
	s_or_b32 s29, s29, 0x40000                                 // 000000002BBC: 871DFF1D 00040000
	s_or_b32 s33, s33, 0x40000                                 // 000000002BC4: 8721FF21 00040000
	s_or_b32 s13, s13, 0x40000                                 // 000000002BCC: 870DFF0D 00040000
	s_or_b32 s37, s37, 0x40000                                 // 000000002BD4: 8725FF25 00040000
	v_accvgpr_write_b32 a95, 0                                 // 000000002BDC: D3D9405F 18000080
	v_mov_b32_e32 v119, 0                                      // 000000002BE4: 7EEE0280
	s_waitcnt lgkmcnt(0)                                       // 000000002BE8: BF8CC07F
	s_mul_i32 s60, s3, 64                                      // 000000002BEC: 923CC003
	s_cmp_lt_i32 s60, s48                                      // 000000002BF0: BF04303C
	s_cbranch_scc0 label_190C                                  // 000000002BF4: BF84188B
	s_mov_b32 s80, 0                                           // 000000002BF8: BED00080
	s_lshr_b32 s81, s64, s88                                   // 000000002BFC: 8F515840
	s_mul_i32 s60, s3, 4                                       // 000000002C00: 923C8403
	s_add_u32 s44, s60, s44                                    // 000000002C04: 802C2C3C
	s_addc_u32 s45, 0, s45                                     // 000000002C08: 822D2D80
	s_load_dword s5, s[44:45], 0x0                             // 000000002C0C: C0020156 00000000
	s_mul_i32 s60, s3, 64                                      // 000000002C14: 923CC003
	s_mul_i32 s60, 4, s60                                      // 000000002C18: 923C3C84
	s_add_u32 s12, s60, s12                                    // 000000002C1C: 800C0C3C
	s_addc_u32 s13, 0, s13                                     // 000000002C20: 820D0D80
	v_and_b32_e32 v4, 15, v0                                   // 000000002C24: 2608008F
	v_lshlrev_b32_e32 v4, 2, v4                                // 000000002C28: 24080882
	buffer_load_dword v28, v4, s[12:15], 0 offen               // 000000002C2C: E0501000 80031C04
	v_add_u32_e32 v4, 64, v4                                   // 000000002C34: 680808C0
	buffer_load_dword v29, v4, s[12:15], 0 offen               // 000000002C38: E0501000 80031D04
	v_add_u32_e32 v4, 64, v4                                   // 000000002C40: 680808C0
	buffer_load_dword v30, v4, s[12:15], 0 offen               // 000000002C44: E0501000 80031E04
	v_add_u32_e32 v4, 64, v4                                   // 000000002C4C: 680808C0
	buffer_load_dword v31, v4, s[12:15], 0 offen               // 000000002C50: E0501000 80031F04
	v_add_u32_e32 v4, 64, v4                                   // 000000002C58: 680808C0
	s_mul_i32 s60, 4, s7                                       // 000000002C5C: 923C0784
	v_lshlrev_b32_e32 v4, 4, v0                                // 000000002C60: 24080084
	v_add_u32_e32 v4, s60, v4                                  // 000000002C64: 6808083C
	buffer_load_dword v3, v4, s[12:15], 0 offen                // 000000002C68: E0501000 80030304
	v_mov_b32_e32 v56, 0                                       // 000000002C70: 7E700280
	v_mov_b32_e32 v88, 0                                       // 000000002C74: 7EB00280
	v_mov_b32_e32 v57, 0                                       // 000000002C78: 7E720280
	v_mov_b32_e32 v89, 0                                       // 000000002C7C: 7EB20280
	v_mov_b32_e32 v58, 0                                       // 000000002C80: 7E740280
	v_mov_b32_e32 v90, 0                                       // 000000002C84: 7EB40280
	v_mov_b32_e32 v59, 0                                       // 000000002C88: 7E760280
	v_mov_b32_e32 v91, 0                                       // 000000002C8C: 7EB60280
	v_mov_b32_e32 v60, 0                                       // 000000002C90: 7E780280
	v_mov_b32_e32 v92, 0                                       // 000000002C94: 7EB80280
	v_mov_b32_e32 v61, 0                                       // 000000002C98: 7E7A0280
	v_mov_b32_e32 v93, 0                                       // 000000002C9C: 7EBA0280
	v_mov_b32_e32 v62, 0                                       // 000000002CA0: 7E7C0280
	v_mov_b32_e32 v94, 0                                       // 000000002CA4: 7EBC0280
	v_mov_b32_e32 v63, 0                                       // 000000002CA8: 7E7E0280
	v_mov_b32_e32 v95, 0                                       // 000000002CAC: 7EBE0280
	v_mov_b32_e32 v64, 0                                       // 000000002CB0: 7E800280
	v_mov_b32_e32 v96, 0                                       // 000000002CB4: 7EC00280
	v_mov_b32_e32 v65, 0                                       // 000000002CB8: 7E820280
	v_mov_b32_e32 v97, 0                                       // 000000002CBC: 7EC20280
	v_mov_b32_e32 v66, 0                                       // 000000002CC0: 7E840280
	v_mov_b32_e32 v98, 0                                       // 000000002CC4: 7EC40280
	v_mov_b32_e32 v67, 0                                       // 000000002CC8: 7E860280
	v_mov_b32_e32 v99, 0                                       // 000000002CCC: 7EC60280
	v_mov_b32_e32 v68, 0                                       // 000000002CD0: 7E880280
	v_mov_b32_e32 v100, 0                                      // 000000002CD4: 7EC80280
	v_mov_b32_e32 v69, 0                                       // 000000002CD8: 7E8A0280
	v_mov_b32_e32 v101, 0                                      // 000000002CDC: 7ECA0280
	v_mov_b32_e32 v70, 0                                       // 000000002CE0: 7E8C0280
	v_mov_b32_e32 v102, 0                                      // 000000002CE4: 7ECC0280
	v_mov_b32_e32 v71, 0                                       // 000000002CE8: 7E8E0280
	v_mov_b32_e32 v103, 0                                      // 000000002CEC: 7ECE0280
	v_mov_b32_e32 v72, 0                                       // 000000002CF0: 7E900280
	v_mov_b32_e32 v104, 0                                      // 000000002CF4: 7ED00280
	v_mov_b32_e32 v73, 0                                       // 000000002CF8: 7E920280
	v_mov_b32_e32 v105, 0                                      // 000000002CFC: 7ED20280
	v_mov_b32_e32 v74, 0                                       // 000000002D00: 7E940280
	v_mov_b32_e32 v106, 0                                      // 000000002D04: 7ED40280
	v_mov_b32_e32 v75, 0                                       // 000000002D08: 7E960280
	v_mov_b32_e32 v107, 0                                      // 000000002D0C: 7ED60280
	v_mov_b32_e32 v76, 0                                       // 000000002D10: 7E980280
	v_mov_b32_e32 v108, 0                                      // 000000002D14: 7ED80280
	v_mov_b32_e32 v77, 0                                       // 000000002D18: 7E9A0280
	v_mov_b32_e32 v109, 0                                      // 000000002D1C: 7EDA0280
	v_mov_b32_e32 v78, 0                                       // 000000002D20: 7E9C0280
	v_mov_b32_e32 v110, 0                                      // 000000002D24: 7EDC0280
	v_mov_b32_e32 v79, 0                                       // 000000002D28: 7E9E0280
	v_mov_b32_e32 v111, 0                                      // 000000002D2C: 7EDE0280
	v_mov_b32_e32 v80, 0                                       // 000000002D30: 7EA00280
	v_mov_b32_e32 v112, 0                                      // 000000002D34: 7EE00280
	v_mov_b32_e32 v81, 0                                       // 000000002D38: 7EA20280
	v_mov_b32_e32 v113, 0                                      // 000000002D3C: 7EE20280
	v_mov_b32_e32 v82, 0                                       // 000000002D40: 7EA40280
	v_mov_b32_e32 v114, 0                                      // 000000002D44: 7EE40280
	v_mov_b32_e32 v83, 0                                       // 000000002D48: 7EA60280
	v_mov_b32_e32 v115, 0                                      // 000000002D4C: 7EE60280
	v_mov_b32_e32 v84, 0                                       // 000000002D50: 7EA80280
	v_mov_b32_e32 v116, 0                                      // 000000002D54: 7EE80280
	v_mov_b32_e32 v85, 0                                       // 000000002D58: 7EAA0280
	v_mov_b32_e32 v117, 0                                      // 000000002D5C: 7EEA0280
	v_mov_b32_e32 v86, 0                                       // 000000002D60: 7EAC0280
	v_mov_b32_e32 v118, 0                                      // 000000002D64: 7EEC0280
	v_mov_b32_e32 v87, 0                                       // 000000002D68: 7EAE0280
	v_mov_b32_e32 v119, 0                                      // 000000002D6C: 7EEE0280
	s_mul_i32 s60, s2, 0x100                                   // 000000002D70: 923CFF02 00000100
	s_cmp_eq_u32 s88, 0                                        // 000000002D78: BF068058
	s_cselect_b32 s61, 1, 2                                    // 000000002D7C: 853D8281
	s_mul_i32 s60, s60, s61                                    // 000000002D80: 923C3D3C
	s_mov_b32 s90, s8                                          // 000000002D84: BEDA0008
	s_mov_b32 s91, s9                                          // 000000002D88: BEDB0009
	s_add_u32 s8, s60, s8                                      // 000000002D8C: 8008083C
	s_addc_u32 s9, 0, s9                                       // 000000002D90: 82090980
	v_lshrrev_b32_e32 v4, 4, v0                                // 000000002D94: 20080084
	v_mul_lo_u32 v20, 34, v4                                   // 000000002D98: D2850014 000208A2
	v_and_b32_e32 v4, 15, v0                                   // 000000002DA0: 2608008F
	v_mul_lo_u32 v5, 2, v4                                     // 000000002DA4: D2850005 00020882
	v_add_u32_e32 v20, v5, v20                                 // 000000002DAC: 68282905
	s_mul_i32 s60, s7, 0x88                                    // 000000002DB0: 923CFF07 00000088
	v_add_u32_e32 v20, s60, v20                                // 000000002DB8: 6828283C
	v_lshlrev_b32_e32 v20, 2, v20                              // 000000002DBC: 24282882
	v_and_b32_e32 v4, 31, v0                                   // 000000002DC0: 2608009F
	v_lshrrev_b32_e32 v4, 1, v4                                // 000000002DC4: 20080881
	v_mul_lo_u32 v21, 34, v4                                   // 000000002DC8: D2850015 000208A2
	v_lshrrev_b32_e32 v4, 5, v0                                // 000000002DD0: 20080085
	v_mul_lo_u32 v4, 8, v4                                     // 000000002DD4: D2850004 00020888
	v_add_u32_e32 v21, v21, v4                                 // 000000002DDC: 682A0915
	v_and_b32_e32 v5, 1, v0                                    // 000000002DE0: 260A0081
	v_add_u32_e32 v21, v5, v21                                 // 000000002DE4: 682A2B05
	s_mul_i32 s60, s7, 2                                       // 000000002DE8: 923C8207
	v_add_u32_e32 v21, s60, v21                                // 000000002DEC: 682A2A3C
	v_lshlrev_b32_e32 v21, 2, v21                              // 000000002DF0: 242A2A82
	s_mul_i32 s60, s7, 0x820                                   // 000000002DF4: 923CFF07 00000820
	s_add_u32 s48, 0, s60                                      // 000000002DFC: 80303C80
	s_add_u32 s49, 0x2080, s48                                 // 000000002E00: 803130FF 00002080
	v_lshrrev_b32_e32 v4, 4, v0                                // 000000002E08: 20080084
	v_lshlrev_b32_e32 v5, 2, v4                                // 000000002E0C: 240A0882
	v_and_b32_e32 v4, 15, v0                                   // 000000002E10: 2608008F
	v_lshrrev_b32_e32 v6, 2, v4                                // 000000002E14: 200C0882
	v_lshlrev_b32_e32 v6, 5, v6                                // 000000002E18: 240C0C85
	v_add_u32_e32 v5, v6, v5                                   // 000000002E1C: 680A0B06
	v_and_b32_e32 v4, 3, v0                                    // 000000002E20: 26080083
	v_mul_u32_u24_e32 v6, 0x208, v4                            // 000000002E24: 100C08FF 00000208
	v_add_u32_e32 v5, v6, v5                                   // 000000002E2C: 680A0B06
	v_lshlrev_b32_e32 v2, 2, v5                                // 000000002E30: 24040A82
	s_waitcnt lgkmcnt(0)                                       // 000000002E34: BF8CC07F
	s_mul_i32 s60, s2, 0x80                                    // 000000002E38: 923CFF02 00000080
	s_mul_i32 s60, s60, s69                                    // 000000002E40: 923C453C
	s_mul_i32 s61, s5, s72                                     // 000000002E44: 923D4805
	s_add_u32 s60, s61, s60                                    // 000000002E48: 803C3C3D
	s_add_u32 s24, s60, s24                                    // 000000002E4C: 8018183C
	s_addc_u32 s25, 0, s25                                     // 000000002E50: 82191980
	s_lshr_b32 s60, s64, s88                                   // 000000002E54: 8F3C5840
	s_mul_i32 s60, s4, s60                                     // 000000002E58: 923C3C04
	s_lshr_b32 s60, s60, 7                                     // 000000002E5C: 8F3C873C
	s_mul_i32 s60, s60, 0x800                                  // 000000002E60: 923CFF3C 00000800
	s_add_u32 s24, s60, s24                                    // 000000002E68: 8018183C
	s_addc_u32 s25, 0, s25                                     // 000000002E6C: 82191980
	s_lshr_b32 s60, s69, s88                                   // 000000002E70: 8F3C5845
	s_mul_i32 s60, s4, s60                                     // 000000002E74: 923C3C04
	s_add_u32 s20, s60, s20                                    // 000000002E78: 8014143C
	s_addc_u32 s21, 0, s21                                     // 000000002E7C: 82151580
	s_mul_i32 s60, s7, 16                                      // 000000002E80: 923C9007
	s_mul_i32 s60, s60, s69                                    // 000000002E84: 923C453C
	v_lshlrev_b32_e32 v52, 4, v0                               // 000000002E88: 24680084
	v_add_u32_e32 v52, s60, v52                                // 000000002E8C: 6868683C
	s_mul_i32 s60, 64, s69                                     // 000000002E90: 923C45C0
	v_add_u32_e32 v53, s60, v52                                // 000000002E94: 686A683C
	s_mov_b32 s84, s24                                         // 000000002E98: BED40018
	s_mov_b32 s85, s25                                         // 000000002E9C: BED50019
	s_mov_b32 s86, s26                                         // 000000002EA0: BED6001A
	s_mov_b32 s87, s27                                         // 000000002EA4: BED7001B
	s_mul_i32 s60, s69, s65                                    // 000000002EA8: 923C4145
	s_add_u32 s84, s60, s84                                    // 000000002EAC: 8054543C
	s_addc_u32 s85, 0, s85                                     // 000000002EB0: 82555580
	v_lshrrev_b32_e32 v4, 4, v0                                // 000000002EB4: 20080084
	v_lshlrev_b32_e32 v5, 2, v4                                // 000000002EB8: 240A0882
	v_and_b32_e32 v4, 15, v0                                   // 000000002EBC: 2608008F
	v_lshrrev_b32_e32 v6, 2, v4                                // 000000002EC0: 200C0882
	v_lshlrev_b32_e32 v6, 6, v6                                // 000000002EC4: 240C0C86
	v_add_u32_e32 v5, v6, v5                                   // 000000002EC8: 680A0B06
	v_and_b32_e32 v4, 3, v0                                    // 000000002ECC: 26080083
	v_add_u32_e32 v5, v4, v5                                   // 000000002ED0: 680A0B04
	v_lshlrev_b32_e32 v22, 2, v5                               // 000000002ED4: 242C0A82
	s_mul_i32 s60, s7, 16                                      // 000000002ED8: 923C9007
	s_mul_i32 s60, s60, 4                                      // 000000002EDC: 923C843C
	v_add_u32_e32 v22, s60, v22                                // 000000002EE0: 682C2C3C
	s_mul_i32 s60, s2, 0x80                                    // 000000002EE4: 923CFF02 00000080
	s_mul_i32 s60, s60, 4                                      // 000000002EEC: 923C843C
	s_mul_i32 s61, s5, s74                                     // 000000002EF0: 923D4A05
	s_add_u32 s61, s61, s60                                    // 000000002EF4: 803D3C3D
	s_add_u32 s32, s61, s32                                    // 000000002EF8: 8020203D
	s_addc_u32 s33, 0, s33                                     // 000000002EFC: 82212180
	s_mov_b32 s57, 0x80                                        // 000000002F00: BEB900FF 00000080
	s_mov_b32 s58, 0x800                                       // 000000002F08: BEBA00FF 00000800
	s_mov_b32 s83, s58                                         // 000000002F10: BED3003A
	s_mov_b32 s52, 0x7060302                                   // 000000002F14: BEB400FF 07060302
	s_mov_b32 s53, 0x400                                       // 000000002F1C: BEB500FF 00000400
	s_mov_b32 s54, 0x40100                                     // 000000002F24: BEB600FF 00040100
	s_mov_b32 s55, 0x4020100                                   // 000000002F2C: BEB700FF 04020100
	s_mov_b32 s6, 0x3fb8aa3b                                   // 000000002F34: BE8600FF 3FB8AA3B
	s_mov_b32 s78, 0xbd92220c                                  // 000000002F3C: BECE00FF BD92220C
	s_mov_b32 s79, 0xbd92220c                                  // 000000002F44: BECF00FF BD92220C
	s_mov_b32 m0, s48                                          // 000000002F4C: BEFC0030
	v_mov_b32_e32 v1, 0xbfcc4231                               // 000000002F50: 7E0202FF BFCC4231
	v_mov_b32_e32 v17, 0xffff0000                              // 000000002F58: 7E2202FF FFFF0000
	v_mov_b32_e32 v18, 0x7fff0000                              // 000000002F60: 7E2402FF 7FFF0000
	v_mov_b32_e32 v19, 0x7fff                                  // 000000002F68: 7E2602FF 00007FFF
	s_waitcnt vmcnt(0) expcnt(0) lgkmcnt(0)                    // 000000002F70: BF8C0000
	v_lshrrev_b32_e32 v4, 5, v0                                // 000000002F74: 20080085
	v_xor_b32_e32 v5, 1, v4                                    // 000000002F78: 2A0A0881
	v_readlane_b32 s82, v3, 0                                  // 000000002F7C: D2890052 00010103
	s_and_b32 s82, s82, 0xffffff                               // 000000002F84: 8652FF52 00FFFFFF
	v_mul_lo_u32 v6, v5, s82                                   // 000000002F8C: D2850006 0000A505
	v_readlane_b32 s82, v3, 1                                  // 000000002F94: D2890052 00010303
	s_and_b32 s82, s82, 0xffffff                               // 000000002F9C: 8652FF52 00FFFFFF
	v_mul_lo_u32 v7, v4, s82                                   // 000000002FA4: D2850007 0000A504
	v_add_u32_e32 v44, v6, v7                                  // 000000002FAC: 68580F06
	v_mul_lo_u32 v44, v44, s68                                 // 000000002FB0: D285002C 0000892C
	v_readlane_b32 s82, v3, 2                                  // 000000002FB8: D2890052 00010503
	s_and_b32 s82, s82, 0xffffff                               // 000000002FC0: 8652FF52 00FFFFFF
	v_mul_lo_u32 v6, v5, s82                                   // 000000002FC8: D2850006 0000A505
	v_readlane_b32 s82, v3, 3                                  // 000000002FD0: D2890052 00010703
	s_and_b32 s82, s82, 0xffffff                               // 000000002FD8: 8652FF52 00FFFFFF
	v_mul_lo_u32 v7, v4, s82                                   // 000000002FE0: D2850007 0000A504
	v_add_u32_e32 v45, v6, v7                                  // 000000002FE8: 685A0F06
	v_mul_lo_u32 v45, v45, s68                                 // 000000002FEC: D285002D 0000892D
	v_readlane_b32 s82, v3, 4                                  // 000000002FF4: D2890052 00010903
	s_and_b32 s82, s82, 0xffffff                               // 000000002FFC: 8652FF52 00FFFFFF
	v_mul_lo_u32 v6, v5, s82                                   // 000000003004: D2850006 0000A505
	v_readlane_b32 s82, v3, 5                                  // 00000000300C: D2890052 00010B03
	s_and_b32 s82, s82, 0xffffff                               // 000000003014: 8652FF52 00FFFFFF
	v_mul_lo_u32 v7, v4, s82                                   // 00000000301C: D2850007 0000A504
	v_add_u32_e32 v46, v6, v7                                  // 000000003024: 685C0F06
	v_mul_lo_u32 v46, v46, s68                                 // 000000003028: D285002E 0000892E
	v_readlane_b32 s82, v3, 6                                  // 000000003030: D2890052 00010D03
	s_and_b32 s82, s82, 0xffffff                               // 000000003038: 8652FF52 00FFFFFF
	v_mul_lo_u32 v6, v5, s82                                   // 000000003040: D2850006 0000A505
	v_readlane_b32 s82, v3, 7                                  // 000000003048: D2890052 00010F03
	s_and_b32 s82, s82, 0xffffff                               // 000000003050: 8652FF52 00FFFFFF
	v_mul_lo_u32 v7, v4, s82                                   // 000000003058: D2850007 0000A504
	v_add_u32_e32 v47, v6, v7                                  // 000000003060: 685E0F06
	v_mul_lo_u32 v47, v47, s68                                 // 000000003064: D285002F 0000892F
	v_readlane_b32 s82, v3, 8                                  // 00000000306C: D2890052 00011103
	s_and_b32 s82, s82, 0xffffff                               // 000000003074: 8652FF52 00FFFFFF
	v_mul_lo_u32 v6, v5, s82                                   // 00000000307C: D2850006 0000A505
	v_readlane_b32 s82, v3, 9                                  // 000000003084: D2890052 00011303
	s_and_b32 s82, s82, 0xffffff                               // 00000000308C: 8652FF52 00FFFFFF
	v_mul_lo_u32 v7, v4, s82                                   // 000000003094: D2850007 0000A504
	v_add_u32_e32 v48, v6, v7                                  // 00000000309C: 68600F06
	v_mul_lo_u32 v48, v48, s68                                 // 0000000030A0: D2850030 00008930
	v_readlane_b32 s82, v3, 10                                 // 0000000030A8: D2890052 00011503
	s_and_b32 s82, s82, 0xffffff                               // 0000000030B0: 8652FF52 00FFFFFF
	v_mul_lo_u32 v6, v5, s82                                   // 0000000030B8: D2850006 0000A505
	v_readlane_b32 s82, v3, 11                                 // 0000000030C0: D2890052 00011703
	s_and_b32 s82, s82, 0xffffff                               // 0000000030C8: 8652FF52 00FFFFFF
	v_mul_lo_u32 v7, v4, s82                                   // 0000000030D0: D2850007 0000A504
	v_add_u32_e32 v49, v6, v7                                  // 0000000030D8: 68620F06
	v_mul_lo_u32 v49, v49, s68                                 // 0000000030DC: D2850031 00008931
	v_readlane_b32 s82, v3, 12                                 // 0000000030E4: D2890052 00011903
	s_and_b32 s82, s82, 0xffffff                               // 0000000030EC: 8652FF52 00FFFFFF
	v_mul_lo_u32 v6, v5, s82                                   // 0000000030F4: D2850006 0000A505
	v_readlane_b32 s82, v3, 13                                 // 0000000030FC: D2890052 00011B03
	s_and_b32 s82, s82, 0xffffff                               // 000000003104: 8652FF52 00FFFFFF
	v_mul_lo_u32 v7, v4, s82                                   // 00000000310C: D2850007 0000A504
	v_add_u32_e32 v50, v6, v7                                  // 000000003114: 68640F06
	v_mul_lo_u32 v50, v50, s68                                 // 000000003118: D2850032 00008932
	v_readlane_b32 s82, v3, 14                                 // 000000003120: D2890052 00011D03
	s_and_b32 s82, s82, 0xffffff                               // 000000003128: 8652FF52 00FFFFFF
	v_mul_lo_u32 v6, v5, s82                                   // 000000003130: D2850006 0000A505
	v_readlane_b32 s82, v3, 15                                 // 000000003138: D2890052 00011F03
	s_and_b32 s82, s82, 0xffffff                               // 000000003140: 8652FF52 00FFFFFF
	v_mul_lo_u32 v7, v4, s82                                   // 000000003148: D2850007 0000A504
	v_add_u32_e32 v51, v6, v7                                  // 000000003150: 68660F06
	v_mul_lo_u32 v51, v51, s68                                 // 000000003154: D2850033 00008933
	v_and_b32_e32 v4, 31, v0                                   // 00000000315C: 2608009F
	v_lshlrev_b32_e32 v4, 2, v4                                // 000000003160: 24080882
	v_add_u32_e32 v44, v44, v4                                 // 000000003164: 6858092C
	v_add_u32_e32 v45, v45, v4                                 // 000000003168: 685A092D
	v_add_u32_e32 v46, v46, v4                                 // 00000000316C: 685C092E
	v_add_u32_e32 v47, v47, v4                                 // 000000003170: 685E092F
	v_add_u32_e32 v48, v48, v4                                 // 000000003174: 68600930
	v_add_u32_e32 v49, v49, v4                                 // 000000003178: 68620931
	v_add_u32_e32 v50, v50, v4                                 // 00000000317C: 68640932
	v_add_u32_e32 v51, v51, v4                                 // 000000003180: 68660933
	v_and_b32_e32 v28, 0xffffff, v28                           // 000000003184: 263838FF 00FFFFFF
	v_lshlrev_b32_e32 v28, 2, v28                              // 00000000318C: 24383882
	v_and_b32_e32 v29, 0xffffff, v29                           // 000000003190: 263A3AFF 00FFFFFF
	v_lshlrev_b32_e32 v29, 2, v29                              // 000000003198: 243A3A82
	v_and_b32_e32 v30, 0xffffff, v30                           // 00000000319C: 263C3CFF 00FFFFFF
	v_lshlrev_b32_e32 v30, 2, v30                              // 0000000031A4: 243C3C82
	v_and_b32_e32 v31, 0xffffff, v31                           // 0000000031A8: 263E3EFF 00FFFFFF
	v_lshlrev_b32_e32 v31, 2, v31                              // 0000000031B0: 243E3E82
	s_lshl_b32 s3, s66, 2                                      // 0000000031B4: 8E038242
	buffer_load_dword v32, v28, s[28:31], 0 offen              // 0000000031B8: E0501000 8007201C
	buffer_load_dword v33, v29, s[28:31], 0 offen              // 0000000031C0: E0501000 8007211D
	buffer_load_dword v34, v30, s[28:31], 0 offen              // 0000000031C8: E0501000 8007221E
	buffer_load_dword v35, v31, s[28:31], 0 offen              // 0000000031D0: E0501000 8007231F
	buffer_load_dword v24, v22, s[32:35], 0 offen              // 0000000031D8: E0501000 80081816
	s_mul_i32 s60, 4, s65                                      // 0000000031E0: 923C4184
	s_add_u32 s32, s60, s32                                    // 0000000031E4: 8020203C
	s_addc_u32 s33, 0, s33                                     // 0000000031E8: 82212180
	buffer_load_dword v26, v22, s[32:35], 0 offen              // 0000000031EC: E0501000 80081A16
	buffer_load_dword v44, s[20:23], 0 offen lds               // 0000000031F4: E0511000 8005002C
	s_add_u32 m0, 0x100, s48                                   // 0000000031FC: 807C30FF 00000100
	buffer_load_dword v45, s[20:23], 0 offen lds               // 000000003204: E0511000 8005002D
	s_add_u32 m0, 0x200, s48                                   // 00000000320C: 807C30FF 00000200
	buffer_load_dword v46, s[20:23], 0 offen lds               // 000000003214: E0511000 8005002E
	s_add_u32 m0, 0x300, s48                                   // 00000000321C: 807C30FF 00000300
	buffer_load_dword v47, s[20:23], 0 offen lds               // 000000003224: E0511000 8005002F
	s_add_u32 m0, 0x400, s48                                   // 00000000322C: 807C30FF 00000400
	buffer_load_dword v48, s[20:23], 0 offen lds               // 000000003234: E0511000 80050030
	s_add_u32 m0, 0x500, s48                                   // 00000000323C: 807C30FF 00000500
	buffer_load_dword v49, s[20:23], 0 offen lds               // 000000003244: E0511000 80050031
	s_add_u32 m0, 0x600, s48                                   // 00000000324C: 807C30FF 00000600
	buffer_load_dword v50, s[20:23], 0 offen lds               // 000000003254: E0511000 80050032
	s_add_u32 m0, 0x700, s48                                   // 00000000325C: 807C30FF 00000700
	buffer_load_dword v51, s[20:23], 0 offen lds               // 000000003264: E0511000 80050033
	s_add_u32 m0, 0, s49                                       // 00000000326C: 807C3180
	s_add_u32 s20, s57, s20                                    // 000000003270: 80141439
	s_addc_u32 s21, 0, s21                                     // 000000003274: 82151580
	buffer_load_dword v44, s[20:23], 0 offen lds               // 000000003278: E0511000 8005002C
	s_add_u32 m0, 0x100, s49                                   // 000000003280: 807C31FF 00000100
	buffer_load_dword v45, s[20:23], 0 offen lds               // 000000003288: E0511000 8005002D
	s_add_u32 m0, 0x200, s49                                   // 000000003290: 807C31FF 00000200
	buffer_load_dword v46, s[20:23], 0 offen lds               // 000000003298: E0511000 8005002E
	s_add_u32 m0, 0x300, s49                                   // 0000000032A0: 807C31FF 00000300
	buffer_load_dword v47, s[20:23], 0 offen lds               // 0000000032A8: E0511000 8005002F
	s_add_u32 m0, 0x400, s49                                   // 0000000032B0: 807C31FF 00000400
	buffer_load_dword v48, s[20:23], 0 offen lds               // 0000000032B8: E0511000 80050030
	s_add_u32 m0, 0x500, s49                                   // 0000000032C0: 807C31FF 00000500
	buffer_load_dword v49, s[20:23], 0 offen lds               // 0000000032C8: E0511000 80050031
	s_add_u32 m0, 0x600, s49                                   // 0000000032D0: 807C31FF 00000600
	buffer_load_dword v50, s[20:23], 0 offen lds               // 0000000032D8: E0511000 80050032
	s_add_u32 m0, 0x700, s49                                   // 0000000032E0: 807C31FF 00000700
	buffer_load_dword v51, s[20:23], 0 offen lds               // 0000000032E8: E0511000 80050033
	s_add_u32 m0, 0, s48                                       // 0000000032F0: 807C3080
	s_add_u32 s20, s57, s20                                    // 0000000032F4: 80141439
	s_addc_u32 s21, 0, s21                                     // 0000000032F8: 82151580
	buffer_load_dwordx4 a[64:67], v52, s[24:27], 0 offen       // 0000000032FC: E05C1000 80864034
	buffer_load_dwordx4 a[68:71], v52, s[24:27], 0 offen offset:1024// 000000003304: E05C1400 80864434
	buffer_load_dwordx4 a[72:75], v53, s[24:27], 0 offen       // 00000000330C: E05C1000 80864835
	buffer_load_dwordx4 a[76:79], v53, s[24:27], 0 offen offset:1024// 000000003314: E05C1400 80864C35
	s_add_u32 s24, s58, s24                                    // 00000000331C: 8018183A
	s_addc_u32 s25, 0, s25                                     // 000000003320: 82191980
	s_waitcnt vmcnt(12)                                        // 000000003324: BF8C0F7C
	s_barrier                                                  // 000000003328: BF8A0000
	ds_read_b128 a[0:3], v2                                    // 00000000332C: DBFE0000 00000002
	ds_read_b128 a[4:7], v2 offset:64                          // 000000003334: DBFE0040 04000002
	ds_read_b128 a[8:11], v2 offset:512                        // 00000000333C: DBFE0200 08000002
	ds_read_b128 a[12:15], v2 offset:576                       // 000000003344: DBFE0240 0C000002
	ds_read_b128 a[16:19], v2 offset:1024                      // 00000000334C: DBFE0400 10000002
	ds_read_b128 a[20:23], v2 offset:1088                      // 000000003354: DBFE0440 14000002
	ds_read_b128 a[24:27], v2 offset:1536                      // 00000000335C: DBFE0600 18000002
	ds_read_b128 a[28:31], v2 offset:1600                      // 000000003364: DBFE0640 1C000002
	s_cmp_lt_i32 s7, 2                                         // 00000000336C: BF048207
	s_cbranch_scc0 label_0DB6                                  // 000000003370: BF840B56

0000000000003374 <label_025D>:
	s_waitcnt vmcnt(2) lgkmcnt(0)                              // 000000003374: BF8C0072
	s_barrier                                                  // 000000003378: BF8A0000
	v_mfma_f32_16x16x32_fp8_fp8 v[56:59], a[64:65], a[0:1], v[56:59]// 00000000337C: D3F30038 1CE20140
	v_mfma_f32_16x16x32_fp8_fp8 v[56:59], a[66:67], a[2:3], v[56:59]// 000000003384: D3F30038 1CE20542
	buffer_load_dwordx4 a[80:83], v52, s[84:87], 0 offen       // 00000000338C: E05C1000 80955034
	v_mfma_f32_16x16x32_fp8_fp8 v[56:59], a[68:69], a[4:5], v[56:59]// 000000003394: D3F30038 1CE20944
	v_mfma_f32_16x16x32_fp8_fp8 v[56:59], a[70:71], a[6:7], v[56:59]// 00000000339C: D3F30038 1CE20D46
	v_mfma_f32_16x16x32_fp8_fp8 v[60:63], a[64:65], a[8:9], v[60:63]// 0000000033A4: D3F3003C 1CF21140
	v_mfma_f32_16x16x32_fp8_fp8 v[60:63], a[66:67], a[10:11], v[60:63]// 0000000033AC: D3F3003C 1CF21542
	buffer_load_dwordx4 a[84:87], v52, s[84:87], 0 offen offset:1024// 0000000033B4: E05C1400 80955434
	v_mfma_f32_16x16x32_fp8_fp8 v[60:63], a[68:69], a[12:13], v[60:63]// 0000000033BC: D3F3003C 1CF21944
	v_mfma_f32_16x16x32_fp8_fp8 v[60:63], a[70:71], a[14:15], v[60:63]// 0000000033C4: D3F3003C 1CF21D46
	v_mfma_f32_16x16x32_fp8_fp8 v[64:67], a[64:65], a[16:17], v[64:67]// 0000000033CC: D3F30040 1D022140
	v_mfma_f32_16x16x32_fp8_fp8 v[64:67], a[66:67], a[18:19], v[64:67]// 0000000033D4: D3F30040 1D022542
	buffer_load_dwordx4 a[88:91], v53, s[84:87], 0 offen       // 0000000033DC: E05C1000 80955835
	v_mfma_f32_16x16x32_fp8_fp8 v[64:67], a[68:69], a[20:21], v[64:67]// 0000000033E4: D3F30040 1D022944
	v_mfma_f32_16x16x32_fp8_fp8 v[64:67], a[70:71], a[22:23], v[64:67]// 0000000033EC: D3F30040 1D022D46
	v_mfma_f32_16x16x32_fp8_fp8 v[68:71], a[64:65], a[24:25], v[68:71]// 0000000033F4: D3F30044 1D123140
	v_mfma_f32_16x16x32_fp8_fp8 v[68:71], a[66:67], a[26:27], v[68:71]// 0000000033FC: D3F30044 1D123542
	buffer_load_dwordx4 a[92:95], v53, s[84:87], 0 offen offset:1024// 000000003404: E05C1400 80955C35
	buffer_load_dword v44, s[20:23], 0 offen lds               // 00000000340C: E0511000 8005002C
	s_add_u32 m0, 0x100, s48                                   // 000000003414: 807C30FF 00000100
	v_mfma_f32_16x16x32_fp8_fp8 v[68:71], a[68:69], a[28:29], v[68:71]// 00000000341C: D3F30044 1D123944
	v_mfma_f32_16x16x32_fp8_fp8 v[68:71], a[70:71], a[30:31], v[68:71]// 000000003424: D3F30044 1D123D46
	buffer_load_dword v45, s[20:23], 0 offen lds               // 00000000342C: E0511000 8005002D
	s_add_u32 m0, 0x200, s48                                   // 000000003434: 807C30FF 00000200
	s_waitcnt vmcnt(6)                                         // 00000000343C: BF8C0F76
	v_mfma_f32_16x16x32_fp8_fp8 v[72:75], a[72:73], a[0:1], v[72:75]// 000000003440: D3F30048 1D220148
	v_mfma_f32_16x16x32_fp8_fp8 v[72:75], a[74:75], a[2:3], v[72:75]// 000000003448: D3F30048 1D22054A
	buffer_load_dword v46, s[20:23], 0 offen lds               // 000000003450: E0511000 8005002E
	s_add_u32 m0, 0x300, s48                                   // 000000003458: 807C30FF 00000300
	v_mfma_f32_16x16x32_fp8_fp8 v[72:75], a[76:77], a[4:5], v[72:75]// 000000003460: D3F30048 1D22094C
	v_mfma_f32_16x16x32_fp8_fp8 v[72:75], a[78:79], a[6:7], v[72:75]// 000000003468: D3F30048 1D220D4E
	buffer_load_dword v47, s[20:23], 0 offen lds               // 000000003470: E0511000 8005002F
	s_add_u32 m0, 0x400, s48                                   // 000000003478: 807C30FF 00000400
	v_mfma_f32_16x16x32_fp8_fp8 v[76:79], a[72:73], a[8:9], v[76:79]// 000000003480: D3F3004C 1D321148
	v_mfma_f32_16x16x32_fp8_fp8 v[76:79], a[74:75], a[10:11], v[76:79]// 000000003488: D3F3004C 1D32154A
	buffer_load_dword v48, s[20:23], 0 offen lds               // 000000003490: E0511000 80050030
	s_add_u32 m0, 0x500, s48                                   // 000000003498: 807C30FF 00000500
	v_mfma_f32_16x16x32_fp8_fp8 v[76:79], a[76:77], a[12:13], v[76:79]// 0000000034A0: D3F3004C 1D32194C
	v_mfma_f32_16x16x32_fp8_fp8 v[76:79], a[78:79], a[14:15], v[76:79]// 0000000034A8: D3F3004C 1D321D4E
	buffer_load_dword v49, s[20:23], 0 offen lds               // 0000000034B0: E0511000 80050031
	s_add_u32 m0, 0x600, s48                                   // 0000000034B8: 807C30FF 00000600
	v_mfma_f32_16x16x32_fp8_fp8 v[80:83], a[72:73], a[16:17], v[80:83]// 0000000034C0: D3F30050 1D422148
	v_mfma_f32_16x16x32_fp8_fp8 v[80:83], a[74:75], a[18:19], v[80:83]// 0000000034C8: D3F30050 1D42254A
	buffer_load_dword v50, s[20:23], 0 offen lds               // 0000000034D0: E0511000 80050032
	s_add_u32 m0, 0x700, s48                                   // 0000000034D8: 807C30FF 00000700
	v_mfma_f32_16x16x32_fp8_fp8 v[80:83], a[76:77], a[20:21], v[80:83]// 0000000034E0: D3F30050 1D42294C
	v_mfma_f32_16x16x32_fp8_fp8 v[80:83], a[78:79], a[22:23], v[80:83]// 0000000034E8: D3F30050 1D422D4E
	buffer_load_dword v51, s[20:23], 0 offen lds               // 0000000034F0: E0511000 80050033
	s_add_u32 m0, 0, s49                                       // 0000000034F8: 807C3180
	v_mfma_f32_16x16x32_fp8_fp8 v[84:87], a[72:73], a[24:25], v[84:87]// 0000000034FC: D3F30054 1D523148
	v_mfma_f32_16x16x32_fp8_fp8 v[84:87], a[74:75], a[26:27], v[84:87]// 000000003504: D3F30054 1D52354A
	s_add_u32 s60, 0x80, s80                                   // 00000000350C: 803C50FF 00000080
	s_cmp_lt_u32 s60, s81                                      // 000000003514: BF0A513C
	s_cselect_b32 s83, s83, 0                                  // 000000003518: 85538053
	v_mfma_f32_16x16x32_fp8_fp8 v[84:87], a[76:77], a[28:29], v[84:87]// 00000000351C: D3F30054 1D52394C
	v_mfma_f32_16x16x32_fp8_fp8 v[84:87], a[78:79], a[30:31], v[84:87]// 000000003524: D3F30054 1D523D4E
	s_waitcnt vmcnt(8)                                         // 00000000352C: BF8C0F78
	v_mfma_f32_16x16x32_fp8_fp8 v[88:91], a[80:81], a[0:1], v[88:91]// 000000003530: D3F30058 1D620150
	v_mfma_f32_16x16x32_fp8_fp8 v[88:91], a[82:83], a[2:3], v[88:91]// 000000003538: D3F30058 1D620552
	buffer_load_dwordx4 a[64:67], v52, s[24:27], 0 offen       // 000000003540: E05C1000 80864034
	v_mfma_f32_16x16x32_fp8_fp8 v[88:91], a[84:85], a[4:5], v[88:91]// 000000003548: D3F30058 1D620954
	v_mfma_f32_16x16x32_fp8_fp8 v[88:91], a[86:87], a[6:7], v[88:91]// 000000003550: D3F30058 1D620D56
	ds_read_b128 a[32:35], v2 offset:8320                      // 000000003558: DBFE2080 20000002
	ds_read_b128 a[36:39], v2 offset:8384                      // 000000003560: DBFE20C0 24000002
	v_mfma_f32_16x16x32_fp8_fp8 v[104:107], a[88:89], a[0:1], v[104:107]// 000000003568: D3F30068 1DA20158
	v_mfma_f32_16x16x32_fp8_fp8 v[104:107], a[90:91], a[2:3], v[104:107]// 000000003570: D3F30068 1DA2055A
	buffer_load_dwordx4 a[68:71], v52, s[24:27], 0 offen offset:1024// 000000003578: E05C1400 80864434
	v_mfma_f32_16x16x32_fp8_fp8 v[104:107], a[92:93], a[4:5], v[104:107]// 000000003580: D3F30068 1DA2095C
	v_mfma_f32_16x16x32_fp8_fp8 v[104:107], a[94:95], a[6:7], v[104:107]// 000000003588: D3F30068 1DA20D5E
	ds_read_b128 a[40:43], v2 offset:8832                      // 000000003590: DBFE2280 28000002
	ds_read_b128 a[44:47], v2 offset:8896                      // 000000003598: DBFE22C0 2C000002
	v_mfma_f32_16x16x32_fp8_fp8 v[92:95], a[80:81], a[8:9], v[92:95]// 0000000035A0: D3F3005C 1D721150
	v_mfma_f32_16x16x32_fp8_fp8 v[92:95], a[82:83], a[10:11], v[92:95]// 0000000035A8: D3F3005C 1D721552
	buffer_load_dwordx4 a[72:75], v53, s[24:27], 0 offen       // 0000000035B0: E05C1000 80864835
	v_mfma_f32_16x16x32_fp8_fp8 v[92:95], a[84:85], a[12:13], v[92:95]// 0000000035B8: D3F3005C 1D721954
	v_mfma_f32_16x16x32_fp8_fp8 v[92:95], a[86:87], a[14:15], v[92:95]// 0000000035C0: D3F3005C 1D721D56
	ds_read_b128 a[48:51], v2 offset:9344                      // 0000000035C8: DBFE2480 30000002
	ds_read_b128 a[52:55], v2 offset:9408                      // 0000000035D0: DBFE24C0 34000002
	v_mfma_f32_16x16x32_fp8_fp8 v[108:111], a[88:89], a[8:9], v[108:111]// 0000000035D8: D3F3006C 1DB21158
	v_mfma_f32_16x16x32_fp8_fp8 v[108:111], a[90:91], a[10:11], v[108:111]// 0000000035E0: D3F3006C 1DB2155A
	buffer_load_dwordx4 a[76:79], v53, s[24:27], 0 offen offset:1024// 0000000035E8: E05C1400 80864C35
	v_mfma_f32_16x16x32_fp8_fp8 v[108:111], a[92:93], a[12:13], v[108:111]// 0000000035F0: D3F3006C 1DB2195C
	v_mfma_f32_16x16x32_fp8_fp8 v[108:111], a[94:95], a[14:15], v[108:111]// 0000000035F8: D3F3006C 1DB21D5E
	ds_read_b128 a[56:59], v2 offset:9856                      // 000000003600: DBFE2680 38000002
	ds_read_b128 a[60:63], v2 offset:9920                      // 000000003608: DBFE26C0 3C000002
	v_mfma_f32_16x16x32_fp8_fp8 v[96:99], a[80:81], a[16:17], v[96:99]// 000000003610: D3F30060 1D822150
	v_mfma_f32_16x16x32_fp8_fp8 v[96:99], a[82:83], a[18:19], v[96:99]// 000000003618: D3F30060 1D822552
	v_mfma_f32_16x16x32_fp8_fp8 v[96:99], a[84:85], a[20:21], v[96:99]// 000000003620: D3F30060 1D822954
	v_mfma_f32_16x16x32_fp8_fp8 v[96:99], a[86:87], a[22:23], v[96:99]// 000000003628: D3F30060 1D822D56
	v_mfma_f32_16x16x32_fp8_fp8 v[112:115], a[88:89], a[16:17], v[112:115]// 000000003630: D3F30070 1DC22158
	v_mfma_f32_16x16x32_fp8_fp8 v[112:115], a[90:91], a[18:19], v[112:115]// 000000003638: D3F30070 1DC2255A
	v_mfma_f32_16x16x32_fp8_fp8 v[112:115], a[92:93], a[20:21], v[112:115]// 000000003640: D3F30070 1DC2295C
	v_mfma_f32_16x16x32_fp8_fp8 v[112:115], a[94:95], a[22:23], v[112:115]// 000000003648: D3F30070 1DC22D5E
	v_mfma_f32_16x16x32_fp8_fp8 v[100:103], a[80:81], a[24:25], v[100:103]// 000000003650: D3F30064 1D923150
	v_mfma_f32_16x16x32_fp8_fp8 v[100:103], a[82:83], a[26:27], v[100:103]// 000000003658: D3F30064 1D923552
	v_mfma_f32_16x16x32_fp8_fp8 v[100:103], a[84:85], a[28:29], v[100:103]// 000000003660: D3F30064 1D923954
	s_add_u32 s60, 0x180, s80                                  // 000000003668: 803C50FF 00000180
	s_cmp_lt_u32 s60, s81                                      // 000000003670: BF0A513C
	s_cselect_b32 s57, s57, 0                                  // 000000003674: 85398039
	v_mfma_f32_16x16x32_fp8_fp8 v[100:103], a[86:87], a[30:31], v[100:103]// 000000003678: D3F30064 1D923D56
	s_add_u32 s60, 0x100, s80                                  // 000000003680: 803C50FF 00000100
	s_cmp_lt_u32 s60, s81                                      // 000000003688: BF0A513C
	s_cselect_b32 s58, s58, 0                                  // 00000000368C: 853A803A
	v_mfma_f32_16x16x32_fp8_fp8 v[116:119], a[88:89], a[24:25], v[116:119]// 000000003690: D3F30074 1DD23158
	s_add_u32 s24, s58, s24                                    // 000000003698: 8018183A
	s_addc_u32 s25, 0, s25                                     // 00000000369C: 82191980
	v_mfma_f32_16x16x32_fp8_fp8 v[116:119], a[90:91], a[26:27], v[116:119]// 0000000036A0: D3F30074 1DD2355A
	s_add_u32 s20, s57, s20                                    // 0000000036A8: 80141439
	s_addc_u32 s21, 0, s21                                     // 0000000036AC: 82151580
	v_mfma_f32_16x16x32_fp8_fp8 v[116:119], a[92:93], a[28:29], v[116:119]// 0000000036B0: D3F30074 1DD2395C
	s_add_u32 s84, s83, s84                                    // 0000000036B8: 80545453
	s_addc_u32 s85, 0, s85                                     // 0000000036BC: 82555580
	v_mfma_f32_16x16x32_fp8_fp8 v[116:119], a[94:95], a[30:31], v[116:119]// 0000000036C0: D3F30074 1DD23D5E
	s_addk_i32 s80, 0x80                                       // 0000000036C8: B7500080
	s_cmp_lt_i32 s80, s81                                      // 0000000036CC: BF045150
	s_cbranch_scc0 label_040E                                  // 0000000036D0: BF8400D9
	s_waitcnt vmcnt(2) lgkmcnt(0)                              // 0000000036D4: BF8C0072
	s_barrier                                                  // 0000000036D8: BF8A0000
	v_mfma_f32_16x16x32_fp8_fp8 v[56:59], a[64:65], a[32:33], v[56:59]// 0000000036DC: D3F30038 1CE24140
	v_mfma_f32_16x16x32_fp8_fp8 v[56:59], a[66:67], a[34:35], v[56:59]// 0000000036E4: D3F30038 1CE24542
	buffer_load_dwordx4 a[80:83], v52, s[84:87], 0 offen       // 0000000036EC: E05C1000 80955034
	v_mfma_f32_16x16x32_fp8_fp8 v[56:59], a[68:69], a[36:37], v[56:59]// 0000000036F4: D3F30038 1CE24944
	v_mfma_f32_16x16x32_fp8_fp8 v[56:59], a[70:71], a[38:39], v[56:59]// 0000000036FC: D3F30038 1CE24D46
	v_mfma_f32_16x16x32_fp8_fp8 v[60:63], a[64:65], a[40:41], v[60:63]// 000000003704: D3F3003C 1CF25140
	v_mfma_f32_16x16x32_fp8_fp8 v[60:63], a[66:67], a[42:43], v[60:63]// 00000000370C: D3F3003C 1CF25542
	buffer_load_dwordx4 a[84:87], v52, s[84:87], 0 offen offset:1024// 000000003714: E05C1400 80955434
	v_mfma_f32_16x16x32_fp8_fp8 v[60:63], a[68:69], a[44:45], v[60:63]// 00000000371C: D3F3003C 1CF25944
	v_mfma_f32_16x16x32_fp8_fp8 v[60:63], a[70:71], a[46:47], v[60:63]// 000000003724: D3F3003C 1CF25D46
	v_mfma_f32_16x16x32_fp8_fp8 v[64:67], a[64:65], a[48:49], v[64:67]// 00000000372C: D3F30040 1D026140
	v_mfma_f32_16x16x32_fp8_fp8 v[64:67], a[66:67], a[50:51], v[64:67]// 000000003734: D3F30040 1D026542
	buffer_load_dwordx4 a[88:91], v53, s[84:87], 0 offen       // 00000000373C: E05C1000 80955835
	v_mfma_f32_16x16x32_fp8_fp8 v[64:67], a[68:69], a[52:53], v[64:67]// 000000003744: D3F30040 1D026944
	v_mfma_f32_16x16x32_fp8_fp8 v[64:67], a[70:71], a[54:55], v[64:67]// 00000000374C: D3F30040 1D026D46
	v_mfma_f32_16x16x32_fp8_fp8 v[68:71], a[64:65], a[56:57], v[68:71]// 000000003754: D3F30044 1D127140
	v_mfma_f32_16x16x32_fp8_fp8 v[68:71], a[66:67], a[58:59], v[68:71]// 00000000375C: D3F30044 1D127542
	buffer_load_dwordx4 a[92:95], v53, s[84:87], 0 offen offset:1024// 000000003764: E05C1400 80955C35
	buffer_load_dword v44, s[20:23], 0 offen lds               // 00000000376C: E0511000 8005002C
	s_add_u32 m0, 0x100, s49                                   // 000000003774: 807C31FF 00000100
	v_mfma_f32_16x16x32_fp8_fp8 v[68:71], a[68:69], a[60:61], v[68:71]// 00000000377C: D3F30044 1D127944
	v_mfma_f32_16x16x32_fp8_fp8 v[68:71], a[70:71], a[62:63], v[68:71]// 000000003784: D3F30044 1D127D46
	buffer_load_dword v45, s[20:23], 0 offen lds               // 00000000378C: E0511000 8005002D
	s_add_u32 m0, 0x200, s49                                   // 000000003794: 807C31FF 00000200
	s_waitcnt vmcnt(6)                                         // 00000000379C: BF8C0F76
	v_mfma_f32_16x16x32_fp8_fp8 v[72:75], a[72:73], a[32:33], v[72:75]// 0000000037A0: D3F30048 1D224148
	v_mfma_f32_16x16x32_fp8_fp8 v[72:75], a[74:75], a[34:35], v[72:75]// 0000000037A8: D3F30048 1D22454A
	buffer_load_dword v46, s[20:23], 0 offen lds               // 0000000037B0: E0511000 8005002E
	s_add_u32 m0, 0x300, s49                                   // 0000000037B8: 807C31FF 00000300
	v_mfma_f32_16x16x32_fp8_fp8 v[72:75], a[76:77], a[36:37], v[72:75]// 0000000037C0: D3F30048 1D22494C
	v_mfma_f32_16x16x32_fp8_fp8 v[72:75], a[78:79], a[38:39], v[72:75]// 0000000037C8: D3F30048 1D224D4E
	buffer_load_dword v47, s[20:23], 0 offen lds               // 0000000037D0: E0511000 8005002F
	s_add_u32 m0, 0x400, s49                                   // 0000000037D8: 807C31FF 00000400
	v_mfma_f32_16x16x32_fp8_fp8 v[76:79], a[72:73], a[40:41], v[76:79]// 0000000037E0: D3F3004C 1D325148
	v_mfma_f32_16x16x32_fp8_fp8 v[76:79], a[74:75], a[42:43], v[76:79]// 0000000037E8: D3F3004C 1D32554A
	buffer_load_dword v48, s[20:23], 0 offen lds               // 0000000037F0: E0511000 80050030
	s_add_u32 m0, 0x500, s49                                   // 0000000037F8: 807C31FF 00000500
	v_mfma_f32_16x16x32_fp8_fp8 v[76:79], a[76:77], a[44:45], v[76:79]// 000000003800: D3F3004C 1D32594C
	v_mfma_f32_16x16x32_fp8_fp8 v[76:79], a[78:79], a[46:47], v[76:79]// 000000003808: D3F3004C 1D325D4E
	buffer_load_dword v49, s[20:23], 0 offen lds               // 000000003810: E0511000 80050031
	s_add_u32 m0, 0x600, s49                                   // 000000003818: 807C31FF 00000600
	v_mfma_f32_16x16x32_fp8_fp8 v[80:83], a[72:73], a[48:49], v[80:83]// 000000003820: D3F30050 1D426148
	v_mfma_f32_16x16x32_fp8_fp8 v[80:83], a[74:75], a[50:51], v[80:83]// 000000003828: D3F30050 1D42654A
	buffer_load_dword v50, s[20:23], 0 offen lds               // 000000003830: E0511000 80050032
	s_add_u32 m0, 0x700, s49                                   // 000000003838: 807C31FF 00000700
	v_mfma_f32_16x16x32_fp8_fp8 v[80:83], a[76:77], a[52:53], v[80:83]// 000000003840: D3F30050 1D42694C
	v_mfma_f32_16x16x32_fp8_fp8 v[80:83], a[78:79], a[54:55], v[80:83]// 000000003848: D3F30050 1D426D4E
	buffer_load_dword v51, s[20:23], 0 offen lds               // 000000003850: E0511000 80050033
	s_add_u32 m0, 0, s48                                       // 000000003858: 807C3080
	v_mfma_f32_16x16x32_fp8_fp8 v[84:87], a[72:73], a[56:57], v[84:87]// 00000000385C: D3F30054 1D527148
	v_mfma_f32_16x16x32_fp8_fp8 v[84:87], a[74:75], a[58:59], v[84:87]// 000000003864: D3F30054 1D52754A
	s_add_u32 s60, 0x80, s80                                   // 00000000386C: 803C50FF 00000080
	s_cmp_lt_u32 s60, s81                                      // 000000003874: BF0A513C
	s_cselect_b32 s83, s83, 0                                  // 000000003878: 85538053
	v_mfma_f32_16x16x32_fp8_fp8 v[84:87], a[76:77], a[60:61], v[84:87]// 00000000387C: D3F30054 1D52794C
	v_mfma_f32_16x16x32_fp8_fp8 v[84:87], a[78:79], a[62:63], v[84:87]// 000000003884: D3F30054 1D527D4E
	s_waitcnt vmcnt(8)                                         // 00000000388C: BF8C0F78
	v_mfma_f32_16x16x32_fp8_fp8 v[88:91], a[80:81], a[32:33], v[88:91]// 000000003890: D3F30058 1D624150
	v_mfma_f32_16x16x32_fp8_fp8 v[88:91], a[82:83], a[34:35], v[88:91]// 000000003898: D3F30058 1D624552
	buffer_load_dwordx4 a[64:67], v52, s[24:27], 0 offen       // 0000000038A0: E05C1000 80864034
	v_mfma_f32_16x16x32_fp8_fp8 v[88:91], a[84:85], a[36:37], v[88:91]// 0000000038A8: D3F30058 1D624954
	v_mfma_f32_16x16x32_fp8_fp8 v[88:91], a[86:87], a[38:39], v[88:91]// 0000000038B0: D3F30058 1D624D56
	ds_read_b128 a[0:3], v2                                    // 0000000038B8: DBFE0000 00000002
	ds_read_b128 a[4:7], v2 offset:64                          // 0000000038C0: DBFE0040 04000002
	v_mfma_f32_16x16x32_fp8_fp8 v[104:107], a[88:89], a[32:33], v[104:107]// 0000000038C8: D3F30068 1DA24158
	v_mfma_f32_16x16x32_fp8_fp8 v[104:107], a[90:91], a[34:35], v[104:107]// 0000000038D0: D3F30068 1DA2455A
	buffer_load_dwordx4 a[68:71], v52, s[24:27], 0 offen offset:1024// 0000000038D8: E05C1400 80864434
	v_mfma_f32_16x16x32_fp8_fp8 v[104:107], a[92:93], a[36:37], v[104:107]// 0000000038E0: D3F30068 1DA2495C
	v_mfma_f32_16x16x32_fp8_fp8 v[104:107], a[94:95], a[38:39], v[104:107]// 0000000038E8: D3F30068 1DA24D5E
	ds_read_b128 a[8:11], v2 offset:512                        // 0000000038F0: DBFE0200 08000002
	ds_read_b128 a[12:15], v2 offset:576                       // 0000000038F8: DBFE0240 0C000002
	v_mfma_f32_16x16x32_fp8_fp8 v[92:95], a[80:81], a[40:41], v[92:95]// 000000003900: D3F3005C 1D725150
	v_mfma_f32_16x16x32_fp8_fp8 v[92:95], a[82:83], a[42:43], v[92:95]// 000000003908: D3F3005C 1D725552
	buffer_load_dwordx4 a[72:75], v53, s[24:27], 0 offen       // 000000003910: E05C1000 80864835
	v_mfma_f32_16x16x32_fp8_fp8 v[92:95], a[84:85], a[44:45], v[92:95]// 000000003918: D3F3005C 1D725954
	v_mfma_f32_16x16x32_fp8_fp8 v[92:95], a[86:87], a[46:47], v[92:95]// 000000003920: D3F3005C 1D725D56
	ds_read_b128 a[16:19], v2 offset:1024                      // 000000003928: DBFE0400 10000002
	ds_read_b128 a[20:23], v2 offset:1088                      // 000000003930: DBFE0440 14000002
	v_mfma_f32_16x16x32_fp8_fp8 v[108:111], a[88:89], a[40:41], v[108:111]// 000000003938: D3F3006C 1DB25158
	v_mfma_f32_16x16x32_fp8_fp8 v[108:111], a[90:91], a[42:43], v[108:111]// 000000003940: D3F3006C 1DB2555A
	buffer_load_dwordx4 a[76:79], v53, s[24:27], 0 offen offset:1024// 000000003948: E05C1400 80864C35
	v_mfma_f32_16x16x32_fp8_fp8 v[108:111], a[92:93], a[44:45], v[108:111]// 000000003950: D3F3006C 1DB2595C
	v_mfma_f32_16x16x32_fp8_fp8 v[108:111], a[94:95], a[46:47], v[108:111]// 000000003958: D3F3006C 1DB25D5E
	ds_read_b128 a[24:27], v2 offset:1536                      // 000000003960: DBFE0600 18000002
	ds_read_b128 a[28:31], v2 offset:1600                      // 000000003968: DBFE0640 1C000002
	v_mfma_f32_16x16x32_fp8_fp8 v[96:99], a[80:81], a[48:49], v[96:99]// 000000003970: D3F30060 1D826150
	v_mfma_f32_16x16x32_fp8_fp8 v[96:99], a[82:83], a[50:51], v[96:99]// 000000003978: D3F30060 1D826552
	v_mfma_f32_16x16x32_fp8_fp8 v[96:99], a[84:85], a[52:53], v[96:99]// 000000003980: D3F30060 1D826954
	v_mfma_f32_16x16x32_fp8_fp8 v[96:99], a[86:87], a[54:55], v[96:99]// 000000003988: D3F30060 1D826D56
	v_mfma_f32_16x16x32_fp8_fp8 v[112:115], a[88:89], a[48:49], v[112:115]// 000000003990: D3F30070 1DC26158
	v_mfma_f32_16x16x32_fp8_fp8 v[112:115], a[90:91], a[50:51], v[112:115]// 000000003998: D3F30070 1DC2655A
	v_mfma_f32_16x16x32_fp8_fp8 v[112:115], a[92:93], a[52:53], v[112:115]// 0000000039A0: D3F30070 1DC2695C
	v_mfma_f32_16x16x32_fp8_fp8 v[112:115], a[94:95], a[54:55], v[112:115]// 0000000039A8: D3F30070 1DC26D5E
	v_mfma_f32_16x16x32_fp8_fp8 v[100:103], a[80:81], a[56:57], v[100:103]// 0000000039B0: D3F30064 1D927150
	v_mfma_f32_16x16x32_fp8_fp8 v[100:103], a[82:83], a[58:59], v[100:103]// 0000000039B8: D3F30064 1D927552
	v_mfma_f32_16x16x32_fp8_fp8 v[100:103], a[84:85], a[60:61], v[100:103]// 0000000039C0: D3F30064 1D927954
	s_add_u32 s60, 0x180, s80                                  // 0000000039C8: 803C50FF 00000180
	s_cmp_lt_u32 s60, s81                                      // 0000000039D0: BF0A513C
	s_cselect_b32 s57, s57, 0                                  // 0000000039D4: 85398039
	v_mfma_f32_16x16x32_fp8_fp8 v[100:103], a[86:87], a[62:63], v[100:103]// 0000000039D8: D3F30064 1D927D56
	s_add_u32 s60, 0x100, s80                                  // 0000000039E0: 803C50FF 00000100
	s_cmp_lt_u32 s60, s81                                      // 0000000039E8: BF0A513C
	s_cselect_b32 s58, s58, 0                                  // 0000000039EC: 853A803A
	v_mfma_f32_16x16x32_fp8_fp8 v[116:119], a[88:89], a[56:57], v[116:119]// 0000000039F0: D3F30074 1DD27158
	s_add_u32 s24, s58, s24                                    // 0000000039F8: 8018183A
	s_addc_u32 s25, 0, s25                                     // 0000000039FC: 82191980
	v_mfma_f32_16x16x32_fp8_fp8 v[116:119], a[90:91], a[58:59], v[116:119]// 000000003A00: D3F30074 1DD2755A
	s_add_u32 s20, s57, s20                                    // 000000003A08: 80141439
	s_addc_u32 s21, 0, s21                                     // 000000003A0C: 82151580
	v_mfma_f32_16x16x32_fp8_fp8 v[116:119], a[92:93], a[60:61], v[116:119]// 000000003A10: D3F30074 1DD2795C
	s_add_u32 s84, s83, s84                                    // 000000003A18: 80545453
	s_addc_u32 s85, 0, s85                                     // 000000003A1C: 82555580
	v_mfma_f32_16x16x32_fp8_fp8 v[116:119], a[94:95], a[62:63], v[116:119]// 000000003A20: D3F30074 1DD27D5E
	s_addk_i32 s80, 0x80                                       // 000000003A28: B7500080
	s_cmp_lt_i32 s80, s81                                      // 000000003A2C: BF045150
	s_cbranch_scc0 label_040E                                  // 000000003A30: BF840001
	s_branch label_025D                                        // 000000003A34: BF82FE4F

0000000000003a38 <label_040E>:
	v_mul_f32_dpp v56, v24, v56 row_newbcast:0 row_mask:0xf bank_mask:0xf// 000000003A38: 0A7070FA FF015018
	v_mul_f32_dpp v57, v24, v57 row_newbcast:1 row_mask:0xf bank_mask:0xf// 000000003A40: 0A7272FA FF015118
	v_mul_f32_dpp v58, v24, v58 row_newbcast:2 row_mask:0xf bank_mask:0xf// 000000003A48: 0A7474FA FF015218
	v_mul_f32_dpp v59, v24, v59 row_newbcast:3 row_mask:0xf bank_mask:0xf// 000000003A50: 0A7676FA FF015318
	v_mul_f32_dpp v60, v24, v60 row_newbcast:0 row_mask:0xf bank_mask:0xf// 000000003A58: 0A7878FA FF015018
	v_mul_f32_dpp v61, v24, v61 row_newbcast:1 row_mask:0xf bank_mask:0xf// 000000003A60: 0A7A7AFA FF015118
	v_mul_f32_dpp v62, v24, v62 row_newbcast:2 row_mask:0xf bank_mask:0xf// 000000003A68: 0A7C7CFA FF015218
	v_mul_f32_dpp v63, v24, v63 row_newbcast:3 row_mask:0xf bank_mask:0xf// 000000003A70: 0A7E7EFA FF015318
	v_mul_f32_dpp v64, v24, v64 row_newbcast:0 row_mask:0xf bank_mask:0xf// 000000003A78: 0A8080FA FF015018
	v_mul_f32_dpp v65, v24, v65 row_newbcast:1 row_mask:0xf bank_mask:0xf// 000000003A80: 0A8282FA FF015118
	v_mul_f32_dpp v66, v24, v66 row_newbcast:2 row_mask:0xf bank_mask:0xf// 000000003A88: 0A8484FA FF015218
	v_mul_f32_dpp v67, v24, v67 row_newbcast:3 row_mask:0xf bank_mask:0xf// 000000003A90: 0A8686FA FF015318
	v_mul_f32_dpp v68, v24, v68 row_newbcast:0 row_mask:0xf bank_mask:0xf// 000000003A98: 0A8888FA FF015018
	v_mul_f32_dpp v69, v24, v69 row_newbcast:1 row_mask:0xf bank_mask:0xf// 000000003AA0: 0A8A8AFA FF015118
	v_mul_f32_dpp v70, v24, v70 row_newbcast:2 row_mask:0xf bank_mask:0xf// 000000003AA8: 0A8C8CFA FF015218
	v_mul_f32_dpp v71, v24, v71 row_newbcast:3 row_mask:0xf bank_mask:0xf// 000000003AB0: 0A8E8EFA FF015318
	v_mul_f32_dpp v72, v24, v72 row_newbcast:4 row_mask:0xf bank_mask:0xf// 000000003AB8: 0A9090FA FF015418
	v_mul_f32_dpp v73, v24, v73 row_newbcast:5 row_mask:0xf bank_mask:0xf// 000000003AC0: 0A9292FA FF015518
	v_mul_f32_dpp v74, v24, v74 row_newbcast:6 row_mask:0xf bank_mask:0xf// 000000003AC8: 0A9494FA FF015618
	v_mul_f32_dpp v75, v24, v75 row_newbcast:7 row_mask:0xf bank_mask:0xf// 000000003AD0: 0A9696FA FF015718
	v_mul_f32_dpp v76, v24, v76 row_newbcast:4 row_mask:0xf bank_mask:0xf// 000000003AD8: 0A9898FA FF015418
	v_mul_f32_dpp v77, v24, v77 row_newbcast:5 row_mask:0xf bank_mask:0xf// 000000003AE0: 0A9A9AFA FF015518
	v_mul_f32_dpp v78, v24, v78 row_newbcast:6 row_mask:0xf bank_mask:0xf// 000000003AE8: 0A9C9CFA FF015618
	v_mul_f32_dpp v79, v24, v79 row_newbcast:7 row_mask:0xf bank_mask:0xf// 000000003AF0: 0A9E9EFA FF015718
	v_mul_f32_dpp v80, v24, v80 row_newbcast:4 row_mask:0xf bank_mask:0xf// 000000003AF8: 0AA0A0FA FF015418
	v_mul_f32_dpp v81, v24, v81 row_newbcast:5 row_mask:0xf bank_mask:0xf// 000000003B00: 0AA2A2FA FF015518
	v_mul_f32_dpp v82, v24, v82 row_newbcast:6 row_mask:0xf bank_mask:0xf// 000000003B08: 0AA4A4FA FF015618
	v_mul_f32_dpp v83, v24, v83 row_newbcast:7 row_mask:0xf bank_mask:0xf// 000000003B10: 0AA6A6FA FF015718
	v_mul_f32_dpp v84, v24, v84 row_newbcast:4 row_mask:0xf bank_mask:0xf// 000000003B18: 0AA8A8FA FF015418
	v_mul_f32_dpp v85, v24, v85 row_newbcast:5 row_mask:0xf bank_mask:0xf// 000000003B20: 0AAAAAFA FF015518
	v_mul_f32_dpp v86, v24, v86 row_newbcast:6 row_mask:0xf bank_mask:0xf// 000000003B28: 0AACACFA FF015618
	v_mul_f32_dpp v87, v24, v87 row_newbcast:7 row_mask:0xf bank_mask:0xf// 000000003B30: 0AAEAEFA FF015718
	v_mul_f32_dpp v88, v26, v88 row_newbcast:0 row_mask:0xf bank_mask:0xf// 000000003B38: 0AB0B0FA FF01501A
	v_mul_f32_dpp v89, v26, v89 row_newbcast:1 row_mask:0xf bank_mask:0xf// 000000003B40: 0AB2B2FA FF01511A
	v_mul_f32_dpp v90, v26, v90 row_newbcast:2 row_mask:0xf bank_mask:0xf// 000000003B48: 0AB4B4FA FF01521A
	v_mul_f32_dpp v91, v26, v91 row_newbcast:3 row_mask:0xf bank_mask:0xf// 000000003B50: 0AB6B6FA FF01531A
	v_mul_f32_dpp v92, v26, v92 row_newbcast:0 row_mask:0xf bank_mask:0xf// 000000003B58: 0AB8B8FA FF01501A
	v_mul_f32_dpp v93, v26, v93 row_newbcast:1 row_mask:0xf bank_mask:0xf// 000000003B60: 0ABABAFA FF01511A
	v_mul_f32_dpp v94, v26, v94 row_newbcast:2 row_mask:0xf bank_mask:0xf// 000000003B68: 0ABCBCFA FF01521A
	v_mul_f32_dpp v95, v26, v95 row_newbcast:3 row_mask:0xf bank_mask:0xf// 000000003B70: 0ABEBEFA FF01531A
	v_mul_f32_dpp v96, v26, v96 row_newbcast:0 row_mask:0xf bank_mask:0xf// 000000003B78: 0AC0C0FA FF01501A
	v_mul_f32_dpp v97, v26, v97 row_newbcast:1 row_mask:0xf bank_mask:0xf// 000000003B80: 0AC2C2FA FF01511A
	v_mul_f32_dpp v98, v26, v98 row_newbcast:2 row_mask:0xf bank_mask:0xf// 000000003B88: 0AC4C4FA FF01521A
	v_mul_f32_dpp v99, v26, v99 row_newbcast:3 row_mask:0xf bank_mask:0xf// 000000003B90: 0AC6C6FA FF01531A
	v_mul_f32_dpp v100, v26, v100 row_newbcast:0 row_mask:0xf bank_mask:0xf// 000000003B98: 0AC8C8FA FF01501A
	v_mul_f32_dpp v101, v26, v101 row_newbcast:1 row_mask:0xf bank_mask:0xf// 000000003BA0: 0ACACAFA FF01511A
	v_mul_f32_dpp v102, v26, v102 row_newbcast:2 row_mask:0xf bank_mask:0xf// 000000003BA8: 0ACCCCFA FF01521A
	v_mul_f32_dpp v103, v26, v103 row_newbcast:3 row_mask:0xf bank_mask:0xf// 000000003BB0: 0ACECEFA FF01531A
	v_mul_f32_dpp v104, v26, v104 row_newbcast:4 row_mask:0xf bank_mask:0xf// 000000003BB8: 0AD0D0FA FF01541A
	v_mul_f32_dpp v105, v26, v105 row_newbcast:5 row_mask:0xf bank_mask:0xf// 000000003BC0: 0AD2D2FA FF01551A
	v_mul_f32_dpp v106, v26, v106 row_newbcast:6 row_mask:0xf bank_mask:0xf// 000000003BC8: 0AD4D4FA FF01561A
	v_mul_f32_dpp v107, v26, v107 row_newbcast:7 row_mask:0xf bank_mask:0xf// 000000003BD0: 0AD6D6FA FF01571A
	v_mul_f32_dpp v108, v26, v108 row_newbcast:4 row_mask:0xf bank_mask:0xf// 000000003BD8: 0AD8D8FA FF01541A
	v_mul_f32_dpp v109, v26, v109 row_newbcast:5 row_mask:0xf bank_mask:0xf// 000000003BE0: 0ADADAFA FF01551A
	v_mul_f32_dpp v110, v26, v110 row_newbcast:6 row_mask:0xf bank_mask:0xf// 000000003BE8: 0ADCDCFA FF01561A
	v_mul_f32_dpp v111, v26, v111 row_newbcast:7 row_mask:0xf bank_mask:0xf// 000000003BF0: 0ADEDEFA FF01571A
	v_mul_f32_dpp v112, v26, v112 row_newbcast:4 row_mask:0xf bank_mask:0xf// 000000003BF8: 0AE0E0FA FF01541A
	v_mul_f32_dpp v113, v26, v113 row_newbcast:5 row_mask:0xf bank_mask:0xf// 000000003C00: 0AE2E2FA FF01551A
	v_mul_f32_dpp v114, v26, v114 row_newbcast:6 row_mask:0xf bank_mask:0xf// 000000003C08: 0AE4E4FA FF01561A
	v_mul_f32_dpp v115, v26, v115 row_newbcast:7 row_mask:0xf bank_mask:0xf// 000000003C10: 0AE6E6FA FF01571A
	v_mul_f32_dpp v116, v26, v116 row_newbcast:4 row_mask:0xf bank_mask:0xf// 000000003C18: 0AE8E8FA FF01541A
	v_mul_f32_dpp v117, v26, v117 row_newbcast:5 row_mask:0xf bank_mask:0xf// 000000003C20: 0AEAEAFA FF01551A
	v_mul_f32_dpp v118, v26, v118 row_newbcast:6 row_mask:0xf bank_mask:0xf// 000000003C28: 0AECECFA FF01561A
	v_mul_f32_dpp v119, v26, v119 row_newbcast:7 row_mask:0xf bank_mask:0xf// 000000003C30: 0AEEEEFA FF01571A
	v_mov_b32_e32 v4, v32                                      // 000000003C38: 7E080320
	v_mov_b32_e32 v5, v4                                       // 000000003C3C: 7E0A0304
	v_pk_mul_f32 v[56:57], v[4:5], v[56:57]                    // 000000003C40: D3B14038 18027104
	v_pk_mul_f32 v[88:89], v[4:5], v[88:89]                    // 000000003C48: D3B14058 1802B104
	v_pk_mul_f32 v[58:59], v[4:5], v[58:59]                    // 000000003C50: D3B1403A 18027504
	v_pk_mul_f32 v[90:91], v[4:5], v[90:91]                    // 000000003C58: D3B1405A 1802B504
	v_pk_mul_f32 v[72:73], v[4:5], v[72:73]                    // 000000003C60: D3B14048 18029104
	v_pk_mul_f32 v[104:105], v[4:5], v[104:105]                // 000000003C68: D3B14068 1802D104
	v_pk_mul_f32 v[74:75], v[4:5], v[74:75]                    // 000000003C70: D3B1404A 18029504
	v_pk_mul_f32 v[106:107], v[4:5], v[106:107]                // 000000003C78: D3B1406A 1802D504
	v_mov_b32_e32 v4, v33                                      // 000000003C80: 7E080321
	v_mov_b32_e32 v5, v4                                       // 000000003C84: 7E0A0304
	v_pk_mul_f32 v[60:61], v[4:5], v[60:61]                    // 000000003C88: D3B1403C 18027904
	v_pk_mul_f32 v[92:93], v[4:5], v[92:93]                    // 000000003C90: D3B1405C 1802B904
	v_pk_mul_f32 v[62:63], v[4:5], v[62:63]                    // 000000003C98: D3B1403E 18027D04
	v_pk_mul_f32 v[94:95], v[4:5], v[94:95]                    // 000000003CA0: D3B1405E 1802BD04
	v_pk_mul_f32 v[76:77], v[4:5], v[76:77]                    // 000000003CA8: D3B1404C 18029904
	v_pk_mul_f32 v[108:109], v[4:5], v[108:109]                // 000000003CB0: D3B1406C 1802D904
	v_pk_mul_f32 v[78:79], v[4:5], v[78:79]                    // 000000003CB8: D3B1404E 18029D04
	v_pk_mul_f32 v[110:111], v[4:5], v[110:111]                // 000000003CC0: D3B1406E 1802DD04
	v_mov_b32_e32 v4, v34                                      // 000000003CC8: 7E080322
	v_mov_b32_e32 v5, v4                                       // 000000003CCC: 7E0A0304
	v_pk_mul_f32 v[64:65], v[4:5], v[64:65]                    // 000000003CD0: D3B14040 18028104
	v_pk_mul_f32 v[96:97], v[4:5], v[96:97]                    // 000000003CD8: D3B14060 1802C104
	v_pk_mul_f32 v[66:67], v[4:5], v[66:67]                    // 000000003CE0: D3B14042 18028504
	v_pk_mul_f32 v[98:99], v[4:5], v[98:99]                    // 000000003CE8: D3B14062 1802C504
	v_pk_mul_f32 v[80:81], v[4:5], v[80:81]                    // 000000003CF0: D3B14050 1802A104
	v_pk_mul_f32 v[112:113], v[4:5], v[112:113]                // 000000003CF8: D3B14070 1802E104
	v_pk_mul_f32 v[82:83], v[4:5], v[82:83]                    // 000000003D00: D3B14052 1802A504
	v_pk_mul_f32 v[114:115], v[4:5], v[114:115]                // 000000003D08: D3B14072 1802E504
	v_mov_b32_e32 v4, v35                                      // 000000003D10: 7E080323
	v_mov_b32_e32 v5, v4                                       // 000000003D14: 7E0A0304
	v_pk_mul_f32 v[68:69], v[4:5], v[68:69]                    // 000000003D18: D3B14044 18028904
	v_pk_mul_f32 v[100:101], v[4:5], v[100:101]                // 000000003D20: D3B14064 1802C904
	v_pk_mul_f32 v[70:71], v[4:5], v[70:71]                    // 000000003D28: D3B14046 18028D04
	v_pk_mul_f32 v[102:103], v[4:5], v[102:103]                // 000000003D30: D3B14066 1802CD04
	v_pk_mul_f32 v[84:85], v[4:5], v[84:85]                    // 000000003D38: D3B14054 1802A904
	v_pk_mul_f32 v[116:117], v[4:5], v[116:117]                // 000000003D40: D3B14074 1802E904
	v_pk_mul_f32 v[86:87], v[4:5], v[86:87]                    // 000000003D48: D3B14056 1802AD04
	v_pk_mul_f32 v[118:119], v[4:5], v[118:119]                // 000000003D50: D3B14076 1802ED04
	s_cmp_eq_u32 s88, 0                                        // 000000003D58: BF068058
	s_cbranch_scc0 label_0999                                  // 000000003D5C: BF8404C1
	s_cmp_eq_u32 s89, 0                                        // 000000003D60: BF068059
	s_cbranch_scc1 label_061F                                  // 000000003D64: BF850145
	v_mov_b32_e32 v8, v1                                       // 000000003D68: 7E100301
	v_mov_b32_e32 v9, v1                                       // 000000003D6C: 7E120301
	s_mov_b32 s60, s6                                          // 000000003D70: BEBC0006
	s_mov_b32 s61, s6                                          // 000000003D74: BEBD0006
	v_pk_mul_f32 v[4:5], v[56:57], v[56:57]                    // 000000003D78: D3B14004 18027138
	v_pk_mul_f32 v[6:7], v[58:59], v[58:59]                    // 000000003D80: D3B14006 1802753A
	v_pk_fma_f32 v[4:5], v[4:5], s[78:79], v[8:9]              // 000000003D88: D3B04004 1C209D04
	v_pk_fma_f32 v[6:7], v[6:7], s[78:79], v[8:9]              // 000000003D90: D3B04006 1C209D06
	v_pk_mul_f32 v[4:5], v[4:5], v[56:57]                      // 000000003D98: D3B14004 18027104
	v_pk_mul_f32 v[6:7], v[6:7], v[58:59]                      // 000000003DA0: D3B14006 18027506
	v_pk_mul_f32 v[4:5], v[4:5], s[60:61]                      // 000000003DA8: D3B14004 18007904
	v_pk_mul_f32 v[6:7], v[6:7], s[60:61]                      // 000000003DB0: D3B14006 18007906
	v_exp_f32_e32 v4, v4                                       // 000000003DB8: 7E084104
	v_exp_f32_e32 v5, v5                                       // 000000003DBC: 7E0A4105
	v_exp_f32_e32 v6, v6                                       // 000000003DC0: 7E0C4106
	v_exp_f32_e32 v7, v7                                       // 000000003DC4: 7E0E4107
	v_add_f32_e64 v4, v4, 1.0                                  // 000000003DC8: D1010004 0001E504
	v_add_f32_e64 v5, v5, 1.0                                  // 000000003DD0: D1010005 0001E505
	v_add_f32_e64 v6, v6, 1.0                                  // 000000003DD8: D1010006 0001E506
	v_add_f32_e64 v7, v7, 1.0                                  // 000000003DE0: D1010007 0001E507
	v_rcp_f32_e32 v4, v4                                       // 000000003DE8: 7E084504
	v_rcp_f32_e32 v5, v5                                       // 000000003DEC: 7E0A4505
	v_rcp_f32_e32 v6, v6                                       // 000000003DF0: 7E0C4506
	v_rcp_f32_e32 v7, v7                                       // 000000003DF4: 7E0E4507
	v_mul_f32_e32 v56, v56, v4                                 // 000000003DF8: 0A700938
	v_mul_f32_e32 v57, v57, v5                                 // 000000003DFC: 0A720B39
	v_mul_f32_e32 v58, v58, v6                                 // 000000003E00: 0A740D3A
	v_mul_f32_e32 v59, v59, v7                                 // 000000003E04: 0A760F3B
	v_mul_f32_e32 v56, v56, v88                                // 000000003E08: 0A70B138
	v_mul_f32_e32 v57, v57, v89                                // 000000003E0C: 0A72B339
	v_mul_f32_e32 v58, v58, v90                                // 000000003E10: 0A74B53A
	v_mul_f32_e32 v59, v59, v91                                // 000000003E14: 0A76B73B
	v_pk_mul_f32 v[4:5], v[60:61], v[60:61]                    // 000000003E18: D3B14004 1802793C
	v_pk_mul_f32 v[6:7], v[62:63], v[62:63]                    // 000000003E20: D3B14006 18027D3E
	v_pk_fma_f32 v[4:5], v[4:5], s[78:79], v[8:9]              // 000000003E28: D3B04004 1C209D04
	v_pk_fma_f32 v[6:7], v[6:7], s[78:79], v[8:9]              // 000000003E30: D3B04006 1C209D06
	v_pk_mul_f32 v[4:5], v[4:5], v[60:61]                      // 000000003E38: D3B14004 18027904
	v_pk_mul_f32 v[6:7], v[6:7], v[62:63]                      // 000000003E40: D3B14006 18027D06
	v_pk_mul_f32 v[4:5], v[4:5], s[60:61]                      // 000000003E48: D3B14004 18007904
	v_pk_mul_f32 v[6:7], v[6:7], s[60:61]                      // 000000003E50: D3B14006 18007906
	v_exp_f32_e32 v4, v4                                       // 000000003E58: 7E084104
	v_exp_f32_e32 v5, v5                                       // 000000003E5C: 7E0A4105
	v_exp_f32_e32 v6, v6                                       // 000000003E60: 7E0C4106
	v_exp_f32_e32 v7, v7                                       // 000000003E64: 7E0E4107
	v_add_f32_e64 v4, v4, 1.0                                  // 000000003E68: D1010004 0001E504
	v_add_f32_e64 v5, v5, 1.0                                  // 000000003E70: D1010005 0001E505
	v_add_f32_e64 v6, v6, 1.0                                  // 000000003E78: D1010006 0001E506
	v_add_f32_e64 v7, v7, 1.0                                  // 000000003E80: D1010007 0001E507
	v_rcp_f32_e32 v4, v4                                       // 000000003E88: 7E084504
	v_rcp_f32_e32 v5, v5                                       // 000000003E8C: 7E0A4505
	v_rcp_f32_e32 v6, v6                                       // 000000003E90: 7E0C4506
	v_rcp_f32_e32 v7, v7                                       // 000000003E94: 7E0E4507
	v_mul_f32_e32 v60, v60, v4                                 // 000000003E98: 0A78093C
	v_mul_f32_e32 v61, v61, v5                                 // 000000003E9C: 0A7A0B3D
	v_mul_f32_e32 v62, v62, v6                                 // 000000003EA0: 0A7C0D3E
	v_mul_f32_e32 v63, v63, v7                                 // 000000003EA4: 0A7E0F3F
	v_mul_f32_e32 v60, v60, v92                                // 000000003EA8: 0A78B93C
	v_mul_f32_e32 v61, v61, v93                                // 000000003EAC: 0A7ABB3D
	v_mul_f32_e32 v62, v62, v94                                // 000000003EB0: 0A7CBD3E
	v_mul_f32_e32 v63, v63, v95                                // 000000003EB4: 0A7EBF3F
	v_pk_mul_f32 v[4:5], v[64:65], v[64:65]                    // 000000003EB8: D3B14004 18028140
	v_pk_mul_f32 v[6:7], v[66:67], v[66:67]                    // 000000003EC0: D3B14006 18028542
	v_pk_fma_f32 v[4:5], v[4:5], s[78:79], v[8:9]              // 000000003EC8: D3B04004 1C209D04
	v_pk_fma_f32 v[6:7], v[6:7], s[78:79], v[8:9]              // 000000003ED0: D3B04006 1C209D06
	v_pk_mul_f32 v[4:5], v[4:5], v[64:65]                      // 000000003ED8: D3B14004 18028104
	v_pk_mul_f32 v[6:7], v[6:7], v[66:67]                      // 000000003EE0: D3B14006 18028506
	v_pk_mul_f32 v[4:5], v[4:5], s[60:61]                      // 000000003EE8: D3B14004 18007904
	v_pk_mul_f32 v[6:7], v[6:7], s[60:61]                      // 000000003EF0: D3B14006 18007906
	v_exp_f32_e32 v4, v4                                       // 000000003EF8: 7E084104
	v_exp_f32_e32 v5, v5                                       // 000000003EFC: 7E0A4105
	v_exp_f32_e32 v6, v6                                       // 000000003F00: 7E0C4106
	v_exp_f32_e32 v7, v7                                       // 000000003F04: 7E0E4107
	v_add_f32_e64 v4, v4, 1.0                                  // 000000003F08: D1010004 0001E504
	v_add_f32_e64 v5, v5, 1.0                                  // 000000003F10: D1010005 0001E505
	v_add_f32_e64 v6, v6, 1.0                                  // 000000003F18: D1010006 0001E506
	v_add_f32_e64 v7, v7, 1.0                                  // 000000003F20: D1010007 0001E507
	v_rcp_f32_e32 v4, v4                                       // 000000003F28: 7E084504
	v_rcp_f32_e32 v5, v5                                       // 000000003F2C: 7E0A4505
	v_rcp_f32_e32 v6, v6                                       // 000000003F30: 7E0C4506
	v_rcp_f32_e32 v7, v7                                       // 000000003F34: 7E0E4507
	v_mul_f32_e32 v64, v64, v4                                 // 000000003F38: 0A800940
	v_mul_f32_e32 v65, v65, v5                                 // 000000003F3C: 0A820B41
	v_mul_f32_e32 v66, v66, v6                                 // 000000003F40: 0A840D42
	v_mul_f32_e32 v67, v67, v7                                 // 000000003F44: 0A860F43
	v_mul_f32_e32 v64, v64, v96                                // 000000003F48: 0A80C140
	v_mul_f32_e32 v65, v65, v97                                // 000000003F4C: 0A82C341
	v_mul_f32_e32 v66, v66, v98                                // 000000003F50: 0A84C542
	v_mul_f32_e32 v67, v67, v99                                // 000000003F54: 0A86C743
	v_pk_mul_f32 v[4:5], v[68:69], v[68:69]                    // 000000003F58: D3B14004 18028944
	v_pk_mul_f32 v[6:7], v[70:71], v[70:71]                    // 000000003F60: D3B14006 18028D46
	v_pk_fma_f32 v[4:5], v[4:5], s[78:79], v[8:9]              // 000000003F68: D3B04004 1C209D04
	v_pk_fma_f32 v[6:7], v[6:7], s[78:79], v[8:9]              // 000000003F70: D3B04006 1C209D06
	v_pk_mul_f32 v[4:5], v[4:5], v[68:69]                      // 000000003F78: D3B14004 18028904
	v_pk_mul_f32 v[6:7], v[6:7], v[70:71]                      // 000000003F80: D3B14006 18028D06
	v_pk_mul_f32 v[4:5], v[4:5], s[60:61]                      // 000000003F88: D3B14004 18007904
	v_pk_mul_f32 v[6:7], v[6:7], s[60:61]                      // 000000003F90: D3B14006 18007906
	v_exp_f32_e32 v4, v4                                       // 000000003F98: 7E084104
	v_exp_f32_e32 v5, v5                                       // 000000003F9C: 7E0A4105
	v_exp_f32_e32 v6, v6                                       // 000000003FA0: 7E0C4106
	v_exp_f32_e32 v7, v7                                       // 000000003FA4: 7E0E4107
	v_add_f32_e64 v4, v4, 1.0                                  // 000000003FA8: D1010004 0001E504
	v_add_f32_e64 v5, v5, 1.0                                  // 000000003FB0: D1010005 0001E505
	v_add_f32_e64 v6, v6, 1.0                                  // 000000003FB8: D1010006 0001E506
	v_add_f32_e64 v7, v7, 1.0                                  // 000000003FC0: D1010007 0001E507
	v_rcp_f32_e32 v4, v4                                       // 000000003FC8: 7E084504
	v_rcp_f32_e32 v5, v5                                       // 000000003FCC: 7E0A4505
	v_rcp_f32_e32 v6, v6                                       // 000000003FD0: 7E0C4506
	v_rcp_f32_e32 v7, v7                                       // 000000003FD4: 7E0E4507
	v_mul_f32_e32 v68, v68, v4                                 // 000000003FD8: 0A880944
	v_mul_f32_e32 v69, v69, v5                                 // 000000003FDC: 0A8A0B45
	v_mul_f32_e32 v70, v70, v6                                 // 000000003FE0: 0A8C0D46
	v_mul_f32_e32 v71, v71, v7                                 // 000000003FE4: 0A8E0F47
	v_mul_f32_e32 v68, v68, v100                               // 000000003FE8: 0A88C944
	v_mul_f32_e32 v69, v69, v101                               // 000000003FEC: 0A8ACB45
	v_mul_f32_e32 v70, v70, v102                               // 000000003FF0: 0A8CCD46
	v_mul_f32_e32 v71, v71, v103                               // 000000003FF4: 0A8ECF47
	v_pk_mul_f32 v[4:5], v[72:73], v[72:73]                    // 000000003FF8: D3B14004 18029148
	v_pk_mul_f32 v[6:7], v[74:75], v[74:75]                    // 000000004000: D3B14006 1802954A
	v_pk_fma_f32 v[4:5], v[4:5], s[78:79], v[8:9]              // 000000004008: D3B04004 1C209D04
	v_pk_fma_f32 v[6:7], v[6:7], s[78:79], v[8:9]              // 000000004010: D3B04006 1C209D06
	v_pk_mul_f32 v[4:5], v[4:5], v[72:73]                      // 000000004018: D3B14004 18029104
	v_pk_mul_f32 v[6:7], v[6:7], v[74:75]                      // 000000004020: D3B14006 18029506
	v_pk_mul_f32 v[4:5], v[4:5], s[60:61]                      // 000000004028: D3B14004 18007904
	v_pk_mul_f32 v[6:7], v[6:7], s[60:61]                      // 000000004030: D3B14006 18007906
	v_exp_f32_e32 v4, v4                                       // 000000004038: 7E084104
	v_exp_f32_e32 v5, v5                                       // 00000000403C: 7E0A4105
	v_exp_f32_e32 v6, v6                                       // 000000004040: 7E0C4106
	v_exp_f32_e32 v7, v7                                       // 000000004044: 7E0E4107
	v_add_f32_e64 v4, v4, 1.0                                  // 000000004048: D1010004 0001E504
	v_add_f32_e64 v5, v5, 1.0                                  // 000000004050: D1010005 0001E505
	v_add_f32_e64 v6, v6, 1.0                                  // 000000004058: D1010006 0001E506
	v_add_f32_e64 v7, v7, 1.0                                  // 000000004060: D1010007 0001E507
	v_rcp_f32_e32 v4, v4                                       // 000000004068: 7E084504
	v_rcp_f32_e32 v5, v5                                       // 00000000406C: 7E0A4505
	v_rcp_f32_e32 v6, v6                                       // 000000004070: 7E0C4506
	v_rcp_f32_e32 v7, v7                                       // 000000004074: 7E0E4507
	v_mul_f32_e32 v72, v72, v4                                 // 000000004078: 0A900948
	v_mul_f32_e32 v73, v73, v5                                 // 00000000407C: 0A920B49
	v_mul_f32_e32 v74, v74, v6                                 // 000000004080: 0A940D4A
	v_mul_f32_e32 v75, v75, v7                                 // 000000004084: 0A960F4B
	v_mul_f32_e32 v72, v72, v104                               // 000000004088: 0A90D148
	v_mul_f32_e32 v73, v73, v105                               // 00000000408C: 0A92D349
	v_mul_f32_e32 v74, v74, v106                               // 000000004090: 0A94D54A
	v_mul_f32_e32 v75, v75, v107                               // 000000004094: 0A96D74B
	v_pk_mul_f32 v[4:5], v[76:77], v[76:77]                    // 000000004098: D3B14004 1802994C
	v_pk_mul_f32 v[6:7], v[78:79], v[78:79]                    // 0000000040A0: D3B14006 18029D4E
	v_pk_fma_f32 v[4:5], v[4:5], s[78:79], v[8:9]              // 0000000040A8: D3B04004 1C209D04
	v_pk_fma_f32 v[6:7], v[6:7], s[78:79], v[8:9]              // 0000000040B0: D3B04006 1C209D06
	v_pk_mul_f32 v[4:5], v[4:5], v[76:77]                      // 0000000040B8: D3B14004 18029904
	v_pk_mul_f32 v[6:7], v[6:7], v[78:79]                      // 0000000040C0: D3B14006 18029D06
	v_pk_mul_f32 v[4:5], v[4:5], s[60:61]                      // 0000000040C8: D3B14004 18007904
	v_pk_mul_f32 v[6:7], v[6:7], s[60:61]                      // 0000000040D0: D3B14006 18007906
	v_exp_f32_e32 v4, v4                                       // 0000000040D8: 7E084104
	v_exp_f32_e32 v5, v5                                       // 0000000040DC: 7E0A4105
	v_exp_f32_e32 v6, v6                                       // 0000000040E0: 7E0C4106
	v_exp_f32_e32 v7, v7                                       // 0000000040E4: 7E0E4107
	v_add_f32_e64 v4, v4, 1.0                                  // 0000000040E8: D1010004 0001E504
	v_add_f32_e64 v5, v5, 1.0                                  // 0000000040F0: D1010005 0001E505
	v_add_f32_e64 v6, v6, 1.0                                  // 0000000040F8: D1010006 0001E506
	v_add_f32_e64 v7, v7, 1.0                                  // 000000004100: D1010007 0001E507
	v_rcp_f32_e32 v4, v4                                       // 000000004108: 7E084504
	v_rcp_f32_e32 v5, v5                                       // 00000000410C: 7E0A4505
	v_rcp_f32_e32 v6, v6                                       // 000000004110: 7E0C4506
	v_rcp_f32_e32 v7, v7                                       // 000000004114: 7E0E4507
	v_mul_f32_e32 v76, v76, v4                                 // 000000004118: 0A98094C
	v_mul_f32_e32 v77, v77, v5                                 // 00000000411C: 0A9A0B4D
	v_mul_f32_e32 v78, v78, v6                                 // 000000004120: 0A9C0D4E
	v_mul_f32_e32 v79, v79, v7                                 // 000000004124: 0A9E0F4F
	v_mul_f32_e32 v76, v76, v108                               // 000000004128: 0A98D94C
	v_mul_f32_e32 v77, v77, v109                               // 00000000412C: 0A9ADB4D
	v_mul_f32_e32 v78, v78, v110                               // 000000004130: 0A9CDD4E
	v_mul_f32_e32 v79, v79, v111                               // 000000004134: 0A9EDF4F
	v_pk_mul_f32 v[4:5], v[80:81], v[80:81]                    // 000000004138: D3B14004 1802A150
	v_pk_mul_f32 v[6:7], v[82:83], v[82:83]                    // 000000004140: D3B14006 1802A552
	v_pk_fma_f32 v[4:5], v[4:5], s[78:79], v[8:9]              // 000000004148: D3B04004 1C209D04
	v_pk_fma_f32 v[6:7], v[6:7], s[78:79], v[8:9]              // 000000004150: D3B04006 1C209D06
	v_pk_mul_f32 v[4:5], v[4:5], v[80:81]                      // 000000004158: D3B14004 1802A104
	v_pk_mul_f32 v[6:7], v[6:7], v[82:83]                      // 000000004160: D3B14006 1802A506
	v_pk_mul_f32 v[4:5], v[4:5], s[60:61]                      // 000000004168: D3B14004 18007904
	v_pk_mul_f32 v[6:7], v[6:7], s[60:61]                      // 000000004170: D3B14006 18007906
	v_exp_f32_e32 v4, v4                                       // 000000004178: 7E084104
	v_exp_f32_e32 v5, v5                                       // 00000000417C: 7E0A4105
	v_exp_f32_e32 v6, v6                                       // 000000004180: 7E0C4106
	v_exp_f32_e32 v7, v7                                       // 000000004184: 7E0E4107
	v_add_f32_e64 v4, v4, 1.0                                  // 000000004188: D1010004 0001E504
	v_add_f32_e64 v5, v5, 1.0                                  // 000000004190: D1010005 0001E505
	v_add_f32_e64 v6, v6, 1.0                                  // 000000004198: D1010006 0001E506
	v_add_f32_e64 v7, v7, 1.0                                  // 0000000041A0: D1010007 0001E507
	v_rcp_f32_e32 v4, v4                                       // 0000000041A8: 7E084504
	v_rcp_f32_e32 v5, v5                                       // 0000000041AC: 7E0A4505
	v_rcp_f32_e32 v6, v6                                       // 0000000041B0: 7E0C4506
	v_rcp_f32_e32 v7, v7                                       // 0000000041B4: 7E0E4507
	v_mul_f32_e32 v80, v80, v4                                 // 0000000041B8: 0AA00950
	v_mul_f32_e32 v81, v81, v5                                 // 0000000041BC: 0AA20B51
	v_mul_f32_e32 v82, v82, v6                                 // 0000000041C0: 0AA40D52
	v_mul_f32_e32 v83, v83, v7                                 // 0000000041C4: 0AA60F53
	v_mul_f32_e32 v80, v80, v112                               // 0000000041C8: 0AA0E150
	v_mul_f32_e32 v81, v81, v113                               // 0000000041CC: 0AA2E351
	v_mul_f32_e32 v82, v82, v114                               // 0000000041D0: 0AA4E552
	v_mul_f32_e32 v83, v83, v115                               // 0000000041D4: 0AA6E753
	v_pk_mul_f32 v[4:5], v[84:85], v[84:85]                    // 0000000041D8: D3B14004 1802A954
	v_pk_mul_f32 v[6:7], v[86:87], v[86:87]                    // 0000000041E0: D3B14006 1802AD56
	v_pk_fma_f32 v[4:5], v[4:5], s[78:79], v[8:9]              // 0000000041E8: D3B04004 1C209D04
	v_pk_fma_f32 v[6:7], v[6:7], s[78:79], v[8:9]              // 0000000041F0: D3B04006 1C209D06
	v_pk_mul_f32 v[4:5], v[4:5], v[84:85]                      // 0000000041F8: D3B14004 1802A904
	v_pk_mul_f32 v[6:7], v[6:7], v[86:87]                      // 000000004200: D3B14006 1802AD06
	v_pk_mul_f32 v[4:5], v[4:5], s[60:61]                      // 000000004208: D3B14004 18007904
	v_pk_mul_f32 v[6:7], v[6:7], s[60:61]                      // 000000004210: D3B14006 18007906
	v_exp_f32_e32 v4, v4                                       // 000000004218: 7E084104
	v_exp_f32_e32 v5, v5                                       // 00000000421C: 7E0A4105
	v_exp_f32_e32 v6, v6                                       // 000000004220: 7E0C4106
	v_exp_f32_e32 v7, v7                                       // 000000004224: 7E0E4107
	v_add_f32_e64 v4, v4, 1.0                                  // 000000004228: D1010004 0001E504
	v_add_f32_e64 v5, v5, 1.0                                  // 000000004230: D1010005 0001E505
	v_add_f32_e64 v6, v6, 1.0                                  // 000000004238: D1010006 0001E506
	v_add_f32_e64 v7, v7, 1.0                                  // 000000004240: D1010007 0001E507
	v_rcp_f32_e32 v4, v4                                       // 000000004248: 7E084504
	v_rcp_f32_e32 v5, v5                                       // 00000000424C: 7E0A4505
	v_rcp_f32_e32 v6, v6                                       // 000000004250: 7E0C4506
	v_rcp_f32_e32 v7, v7                                       // 000000004254: 7E0E4507
	v_mul_f32_e32 v84, v84, v4                                 // 000000004258: 0AA80954
	v_mul_f32_e32 v85, v85, v5                                 // 00000000425C: 0AAA0B55
	v_mul_f32_e32 v86, v86, v6                                 // 000000004260: 0AAC0D56
	v_mul_f32_e32 v87, v87, v7                                 // 000000004264: 0AAE0F57
	v_mul_f32_e32 v84, v84, v116                               // 000000004268: 0AA8E954
	v_mul_f32_e32 v85, v85, v117                               // 00000000426C: 0AAAEB55
	v_mul_f32_e32 v86, v86, v118                               // 000000004270: 0AACED56
	v_mul_f32_e32 v87, v87, v119                               // 000000004274: 0AAEEF57
	s_branch label_071F                                        // 000000004278: BF820100

000000000000427c <label_061F>:
	v_mul_f32_e64 v4, -v56, s6                                 // 00000000427C: D1050004 20000D38
	v_mul_f32_e64 v5, -v57, s6                                 // 000000004284: D1050005 20000D39
	v_mul_f32_e64 v6, -v58, s6                                 // 00000000428C: D1050006 20000D3A
	v_mul_f32_e64 v7, -v59, s6                                 // 000000004294: D1050007 20000D3B
	v_exp_f32_e32 v4, v4                                       // 00000000429C: 7E084104
	v_exp_f32_e32 v5, v5                                       // 0000000042A0: 7E0A4105
	v_exp_f32_e32 v6, v6                                       // 0000000042A4: 7E0C4106
	v_exp_f32_e32 v7, v7                                       // 0000000042A8: 7E0E4107
	v_add_f32_e64 v4, v4, 1.0                                  // 0000000042AC: D1010004 0001E504
	v_add_f32_e64 v5, v5, 1.0                                  // 0000000042B4: D1010005 0001E505
	v_add_f32_e64 v6, v6, 1.0                                  // 0000000042BC: D1010006 0001E506
	v_add_f32_e64 v7, v7, 1.0                                  // 0000000042C4: D1010007 0001E507
	v_rcp_f32_e32 v4, v4                                       // 0000000042CC: 7E084504
	v_rcp_f32_e32 v5, v5                                       // 0000000042D0: 7E0A4505
	v_rcp_f32_e32 v6, v6                                       // 0000000042D4: 7E0C4506
	v_rcp_f32_e32 v7, v7                                       // 0000000042D8: 7E0E4507
	v_mul_f32_e32 v56, v56, v4                                 // 0000000042DC: 0A700938
	v_mul_f32_e32 v57, v57, v5                                 // 0000000042E0: 0A720B39
	v_mul_f32_e32 v58, v58, v6                                 // 0000000042E4: 0A740D3A
	v_mul_f32_e32 v59, v59, v7                                 // 0000000042E8: 0A760F3B
	v_mul_f32_e32 v56, v56, v88                                // 0000000042EC: 0A70B138
	v_mul_f32_e32 v57, v57, v89                                // 0000000042F0: 0A72B339
	v_mul_f32_e32 v58, v58, v90                                // 0000000042F4: 0A74B53A
	v_mul_f32_e32 v59, v59, v91                                // 0000000042F8: 0A76B73B
	v_mul_f32_e64 v4, -v60, s6                                 // 0000000042FC: D1050004 20000D3C
	v_mul_f32_e64 v5, -v61, s6                                 // 000000004304: D1050005 20000D3D
	v_mul_f32_e64 v6, -v62, s6                                 // 00000000430C: D1050006 20000D3E
	v_mul_f32_e64 v7, -v63, s6                                 // 000000004314: D1050007 20000D3F
	v_exp_f32_e32 v4, v4                                       // 00000000431C: 7E084104
	v_exp_f32_e32 v5, v5                                       // 000000004320: 7E0A4105
	v_exp_f32_e32 v6, v6                                       // 000000004324: 7E0C4106
	v_exp_f32_e32 v7, v7                                       // 000000004328: 7E0E4107
	v_add_f32_e64 v4, v4, 1.0                                  // 00000000432C: D1010004 0001E504
	v_add_f32_e64 v5, v5, 1.0                                  // 000000004334: D1010005 0001E505
	v_add_f32_e64 v6, v6, 1.0                                  // 00000000433C: D1010006 0001E506
	v_add_f32_e64 v7, v7, 1.0                                  // 000000004344: D1010007 0001E507
	v_rcp_f32_e32 v4, v4                                       // 00000000434C: 7E084504
	v_rcp_f32_e32 v5, v5                                       // 000000004350: 7E0A4505
	v_rcp_f32_e32 v6, v6                                       // 000000004354: 7E0C4506
	v_rcp_f32_e32 v7, v7                                       // 000000004358: 7E0E4507
	v_mul_f32_e32 v60, v60, v4                                 // 00000000435C: 0A78093C
	v_mul_f32_e32 v61, v61, v5                                 // 000000004360: 0A7A0B3D
	v_mul_f32_e32 v62, v62, v6                                 // 000000004364: 0A7C0D3E
	v_mul_f32_e32 v63, v63, v7                                 // 000000004368: 0A7E0F3F
	v_mul_f32_e32 v60, v60, v92                                // 00000000436C: 0A78B93C
	v_mul_f32_e32 v61, v61, v93                                // 000000004370: 0A7ABB3D
	v_mul_f32_e32 v62, v62, v94                                // 000000004374: 0A7CBD3E
	v_mul_f32_e32 v63, v63, v95                                // 000000004378: 0A7EBF3F
	v_mul_f32_e64 v4, -v64, s6                                 // 00000000437C: D1050004 20000D40
	v_mul_f32_e64 v5, -v65, s6                                 // 000000004384: D1050005 20000D41
	v_mul_f32_e64 v6, -v66, s6                                 // 00000000438C: D1050006 20000D42
	v_mul_f32_e64 v7, -v67, s6                                 // 000000004394: D1050007 20000D43
	v_exp_f32_e32 v4, v4                                       // 00000000439C: 7E084104
	v_exp_f32_e32 v5, v5                                       // 0000000043A0: 7E0A4105
	v_exp_f32_e32 v6, v6                                       // 0000000043A4: 7E0C4106
	v_exp_f32_e32 v7, v7                                       // 0000000043A8: 7E0E4107
	v_add_f32_e64 v4, v4, 1.0                                  // 0000000043AC: D1010004 0001E504
	v_add_f32_e64 v5, v5, 1.0                                  // 0000000043B4: D1010005 0001E505
	v_add_f32_e64 v6, v6, 1.0                                  // 0000000043BC: D1010006 0001E506
	v_add_f32_e64 v7, v7, 1.0                                  // 0000000043C4: D1010007 0001E507
	v_rcp_f32_e32 v4, v4                                       // 0000000043CC: 7E084504
	v_rcp_f32_e32 v5, v5                                       // 0000000043D0: 7E0A4505
	v_rcp_f32_e32 v6, v6                                       // 0000000043D4: 7E0C4506
	v_rcp_f32_e32 v7, v7                                       // 0000000043D8: 7E0E4507
	v_mul_f32_e32 v64, v64, v4                                 // 0000000043DC: 0A800940
	v_mul_f32_e32 v65, v65, v5                                 // 0000000043E0: 0A820B41
	v_mul_f32_e32 v66, v66, v6                                 // 0000000043E4: 0A840D42
	v_mul_f32_e32 v67, v67, v7                                 // 0000000043E8: 0A860F43
	v_mul_f32_e32 v64, v64, v96                                // 0000000043EC: 0A80C140
	v_mul_f32_e32 v65, v65, v97                                // 0000000043F0: 0A82C341
	v_mul_f32_e32 v66, v66, v98                                // 0000000043F4: 0A84C542
	v_mul_f32_e32 v67, v67, v99                                // 0000000043F8: 0A86C743
	v_mul_f32_e64 v4, -v68, s6                                 // 0000000043FC: D1050004 20000D44
	v_mul_f32_e64 v5, -v69, s6                                 // 000000004404: D1050005 20000D45
	v_mul_f32_e64 v6, -v70, s6                                 // 00000000440C: D1050006 20000D46
	v_mul_f32_e64 v7, -v71, s6                                 // 000000004414: D1050007 20000D47
	v_exp_f32_e32 v4, v4                                       // 00000000441C: 7E084104
	v_exp_f32_e32 v5, v5                                       // 000000004420: 7E0A4105
	v_exp_f32_e32 v6, v6                                       // 000000004424: 7E0C4106
	v_exp_f32_e32 v7, v7                                       // 000000004428: 7E0E4107
	v_add_f32_e64 v4, v4, 1.0                                  // 00000000442C: D1010004 0001E504
	v_add_f32_e64 v5, v5, 1.0                                  // 000000004434: D1010005 0001E505
	v_add_f32_e64 v6, v6, 1.0                                  // 00000000443C: D1010006 0001E506
	v_add_f32_e64 v7, v7, 1.0                                  // 000000004444: D1010007 0001E507
	v_rcp_f32_e32 v4, v4                                       // 00000000444C: 7E084504
	v_rcp_f32_e32 v5, v5                                       // 000000004450: 7E0A4505
	v_rcp_f32_e32 v6, v6                                       // 000000004454: 7E0C4506
	v_rcp_f32_e32 v7, v7                                       // 000000004458: 7E0E4507
	v_mul_f32_e32 v68, v68, v4                                 // 00000000445C: 0A880944
	v_mul_f32_e32 v69, v69, v5                                 // 000000004460: 0A8A0B45
	v_mul_f32_e32 v70, v70, v6                                 // 000000004464: 0A8C0D46
	v_mul_f32_e32 v71, v71, v7                                 // 000000004468: 0A8E0F47
	v_mul_f32_e32 v68, v68, v100                               // 00000000446C: 0A88C944
	v_mul_f32_e32 v69, v69, v101                               // 000000004470: 0A8ACB45
	v_mul_f32_e32 v70, v70, v102                               // 000000004474: 0A8CCD46
	v_mul_f32_e32 v71, v71, v103                               // 000000004478: 0A8ECF47
	v_mul_f32_e64 v4, -v72, s6                                 // 00000000447C: D1050004 20000D48
	v_mul_f32_e64 v5, -v73, s6                                 // 000000004484: D1050005 20000D49
	v_mul_f32_e64 v6, -v74, s6                                 // 00000000448C: D1050006 20000D4A
	v_mul_f32_e64 v7, -v75, s6                                 // 000000004494: D1050007 20000D4B
	v_exp_f32_e32 v4, v4                                       // 00000000449C: 7E084104
	v_exp_f32_e32 v5, v5                                       // 0000000044A0: 7E0A4105
	v_exp_f32_e32 v6, v6                                       // 0000000044A4: 7E0C4106
	v_exp_f32_e32 v7, v7                                       // 0000000044A8: 7E0E4107
	v_add_f32_e64 v4, v4, 1.0                                  // 0000000044AC: D1010004 0001E504
	v_add_f32_e64 v5, v5, 1.0                                  // 0000000044B4: D1010005 0001E505
	v_add_f32_e64 v6, v6, 1.0                                  // 0000000044BC: D1010006 0001E506
	v_add_f32_e64 v7, v7, 1.0                                  // 0000000044C4: D1010007 0001E507
	v_rcp_f32_e32 v4, v4                                       // 0000000044CC: 7E084504
	v_rcp_f32_e32 v5, v5                                       // 0000000044D0: 7E0A4505
	v_rcp_f32_e32 v6, v6                                       // 0000000044D4: 7E0C4506
	v_rcp_f32_e32 v7, v7                                       // 0000000044D8: 7E0E4507
	v_mul_f32_e32 v72, v72, v4                                 // 0000000044DC: 0A900948
	v_mul_f32_e32 v73, v73, v5                                 // 0000000044E0: 0A920B49
	v_mul_f32_e32 v74, v74, v6                                 // 0000000044E4: 0A940D4A
	v_mul_f32_e32 v75, v75, v7                                 // 0000000044E8: 0A960F4B
	v_mul_f32_e32 v72, v72, v104                               // 0000000044EC: 0A90D148
	v_mul_f32_e32 v73, v73, v105                               // 0000000044F0: 0A92D349
	v_mul_f32_e32 v74, v74, v106                               // 0000000044F4: 0A94D54A
	v_mul_f32_e32 v75, v75, v107                               // 0000000044F8: 0A96D74B
	v_mul_f32_e64 v4, -v76, s6                                 // 0000000044FC: D1050004 20000D4C
	v_mul_f32_e64 v5, -v77, s6                                 // 000000004504: D1050005 20000D4D
	v_mul_f32_e64 v6, -v78, s6                                 // 00000000450C: D1050006 20000D4E
	v_mul_f32_e64 v7, -v79, s6                                 // 000000004514: D1050007 20000D4F
	v_exp_f32_e32 v4, v4                                       // 00000000451C: 7E084104
	v_exp_f32_e32 v5, v5                                       // 000000004520: 7E0A4105
	v_exp_f32_e32 v6, v6                                       // 000000004524: 7E0C4106
	v_exp_f32_e32 v7, v7                                       // 000000004528: 7E0E4107
	v_add_f32_e64 v4, v4, 1.0                                  // 00000000452C: D1010004 0001E504
	v_add_f32_e64 v5, v5, 1.0                                  // 000000004534: D1010005 0001E505
	v_add_f32_e64 v6, v6, 1.0                                  // 00000000453C: D1010006 0001E506
	v_add_f32_e64 v7, v7, 1.0                                  // 000000004544: D1010007 0001E507
	v_rcp_f32_e32 v4, v4                                       // 00000000454C: 7E084504
	v_rcp_f32_e32 v5, v5                                       // 000000004550: 7E0A4505
	v_rcp_f32_e32 v6, v6                                       // 000000004554: 7E0C4506
	v_rcp_f32_e32 v7, v7                                       // 000000004558: 7E0E4507
	v_mul_f32_e32 v76, v76, v4                                 // 00000000455C: 0A98094C
	v_mul_f32_e32 v77, v77, v5                                 // 000000004560: 0A9A0B4D
	v_mul_f32_e32 v78, v78, v6                                 // 000000004564: 0A9C0D4E
	v_mul_f32_e32 v79, v79, v7                                 // 000000004568: 0A9E0F4F
	v_mul_f32_e32 v76, v76, v108                               // 00000000456C: 0A98D94C
	v_mul_f32_e32 v77, v77, v109                               // 000000004570: 0A9ADB4D
	v_mul_f32_e32 v78, v78, v110                               // 000000004574: 0A9CDD4E
	v_mul_f32_e32 v79, v79, v111                               // 000000004578: 0A9EDF4F
	v_mul_f32_e64 v4, -v80, s6                                 // 00000000457C: D1050004 20000D50
	v_mul_f32_e64 v5, -v81, s6                                 // 000000004584: D1050005 20000D51
	v_mul_f32_e64 v6, -v82, s6                                 // 00000000458C: D1050006 20000D52
	v_mul_f32_e64 v7, -v83, s6                                 // 000000004594: D1050007 20000D53
	v_exp_f32_e32 v4, v4                                       // 00000000459C: 7E084104
	v_exp_f32_e32 v5, v5                                       // 0000000045A0: 7E0A4105
	v_exp_f32_e32 v6, v6                                       // 0000000045A4: 7E0C4106
	v_exp_f32_e32 v7, v7                                       // 0000000045A8: 7E0E4107
	v_add_f32_e64 v4, v4, 1.0                                  // 0000000045AC: D1010004 0001E504
	v_add_f32_e64 v5, v5, 1.0                                  // 0000000045B4: D1010005 0001E505
	v_add_f32_e64 v6, v6, 1.0                                  // 0000000045BC: D1010006 0001E506
	v_add_f32_e64 v7, v7, 1.0                                  // 0000000045C4: D1010007 0001E507
	v_rcp_f32_e32 v4, v4                                       // 0000000045CC: 7E084504
	v_rcp_f32_e32 v5, v5                                       // 0000000045D0: 7E0A4505
	v_rcp_f32_e32 v6, v6                                       // 0000000045D4: 7E0C4506
	v_rcp_f32_e32 v7, v7                                       // 0000000045D8: 7E0E4507
	v_mul_f32_e32 v80, v80, v4                                 // 0000000045DC: 0AA00950
	v_mul_f32_e32 v81, v81, v5                                 // 0000000045E0: 0AA20B51
	v_mul_f32_e32 v82, v82, v6                                 // 0000000045E4: 0AA40D52
	v_mul_f32_e32 v83, v83, v7                                 // 0000000045E8: 0AA60F53
	v_mul_f32_e32 v80, v80, v112                               // 0000000045EC: 0AA0E150
	v_mul_f32_e32 v81, v81, v113                               // 0000000045F0: 0AA2E351
	v_mul_f32_e32 v82, v82, v114                               // 0000000045F4: 0AA4E552
	v_mul_f32_e32 v83, v83, v115                               // 0000000045F8: 0AA6E753
	v_mul_f32_e64 v4, -v84, s6                                 // 0000000045FC: D1050004 20000D54
	v_mul_f32_e64 v5, -v85, s6                                 // 000000004604: D1050005 20000D55
	v_mul_f32_e64 v6, -v86, s6                                 // 00000000460C: D1050006 20000D56
	v_mul_f32_e64 v7, -v87, s6                                 // 000000004614: D1050007 20000D57
	v_exp_f32_e32 v4, v4                                       // 00000000461C: 7E084104
	v_exp_f32_e32 v5, v5                                       // 000000004620: 7E0A4105
	v_exp_f32_e32 v6, v6                                       // 000000004624: 7E0C4106
	v_exp_f32_e32 v7, v7                                       // 000000004628: 7E0E4107
	v_add_f32_e64 v4, v4, 1.0                                  // 00000000462C: D1010004 0001E504
	v_add_f32_e64 v5, v5, 1.0                                  // 000000004634: D1010005 0001E505
	v_add_f32_e64 v6, v6, 1.0                                  // 00000000463C: D1010006 0001E506
	v_add_f32_e64 v7, v7, 1.0                                  // 000000004644: D1010007 0001E507
	v_rcp_f32_e32 v4, v4                                       // 00000000464C: 7E084504
	v_rcp_f32_e32 v5, v5                                       // 000000004650: 7E0A4505
	v_rcp_f32_e32 v6, v6                                       // 000000004654: 7E0C4506
	v_rcp_f32_e32 v7, v7                                       // 000000004658: 7E0E4507
	v_mul_f32_e32 v84, v84, v4                                 // 00000000465C: 0AA80954
	v_mul_f32_e32 v85, v85, v5                                 // 000000004660: 0AAA0B55
	v_mul_f32_e32 v86, v86, v6                                 // 000000004664: 0AAC0D56
	v_mul_f32_e32 v87, v87, v7                                 // 000000004668: 0AAE0F57
	v_mul_f32_e32 v84, v84, v116                               // 00000000466C: 0AA8E954
	v_mul_f32_e32 v85, v85, v117                               // 000000004670: 0AAAEB55
	v_mul_f32_e32 v86, v86, v118                               // 000000004674: 0AACED56
	v_mul_f32_e32 v87, v87, v119                               // 000000004678: 0AAEEF57

000000000000467c <label_071F>:
	v_cmp_u_f32_e64 s[46:47], v56, v56                         // 00000000467C: D048002E 00027138
	v_add3_u32 v16, v56, v19, 1                                // 000000004684: D1FF0010 02062738
	v_cndmask_b32_e64 v4, v16, v18, s[46:47]                   // 00000000468C: D1000004 00BA2510
	v_cmp_u_f32_e64 s[46:47], v57, v57                         // 000000004694: D048002E 00027339
	v_add3_u32 v16, v57, v19, 1                                // 00000000469C: D1FF0010 02062739
	v_cndmask_b32_e64 v5, v16, v18, s[46:47]                   // 0000000046A4: D1000005 00BA2510
	v_perm_b32 v56, v5, v4, s52                                // 0000000046AC: D1ED0038 00D20905
	v_cmp_u_f32_e64 s[46:47], v58, v58                         // 0000000046B4: D048002E 0002753A
	v_add3_u32 v16, v58, v19, 1                                // 0000000046BC: D1FF0010 0206273A
	v_cndmask_b32_e64 v4, v16, v18, s[46:47]                   // 0000000046C4: D1000004 00BA2510
	v_cmp_u_f32_e64 s[46:47], v59, v59                         // 0000000046CC: D048002E 0002773B
	v_add3_u32 v16, v59, v19, 1                                // 0000000046D4: D1FF0010 0206273B
	v_cndmask_b32_e64 v5, v16, v18, s[46:47]                   // 0000000046DC: D1000005 00BA2510
	v_perm_b32 v57, v5, v4, s52                                // 0000000046E4: D1ED0039 00D20905
	v_cmp_u_f32_e64 s[46:47], v60, v60                         // 0000000046EC: D048002E 0002793C
	v_add3_u32 v16, v60, v19, 1                                // 0000000046F4: D1FF0010 0206273C
	v_cndmask_b32_e64 v4, v16, v18, s[46:47]                   // 0000000046FC: D1000004 00BA2510
	v_cmp_u_f32_e64 s[46:47], v61, v61                         // 000000004704: D048002E 00027B3D
	v_add3_u32 v16, v61, v19, 1                                // 00000000470C: D1FF0010 0206273D
	v_cndmask_b32_e64 v5, v16, v18, s[46:47]                   // 000000004714: D1000005 00BA2510
	v_perm_b32 v58, v5, v4, s52                                // 00000000471C: D1ED003A 00D20905
	v_cmp_u_f32_e64 s[46:47], v62, v62                         // 000000004724: D048002E 00027D3E
	v_add3_u32 v16, v62, v19, 1                                // 00000000472C: D1FF0010 0206273E
	v_cndmask_b32_e64 v4, v16, v18, s[46:47]                   // 000000004734: D1000004 00BA2510
	v_cmp_u_f32_e64 s[46:47], v63, v63                         // 00000000473C: D048002E 00027F3F
	v_add3_u32 v16, v63, v19, 1                                // 000000004744: D1FF0010 0206273F
	v_cndmask_b32_e64 v5, v16, v18, s[46:47]                   // 00000000474C: D1000005 00BA2510
	v_perm_b32 v59, v5, v4, s52                                // 000000004754: D1ED003B 00D20905
	v_cmp_u_f32_e64 s[46:47], v64, v64                         // 00000000475C: D048002E 00028140
	v_add3_u32 v16, v64, v19, 1                                // 000000004764: D1FF0010 02062740
	v_cndmask_b32_e64 v4, v16, v18, s[46:47]                   // 00000000476C: D1000004 00BA2510
	v_cmp_u_f32_e64 s[46:47], v65, v65                         // 000000004774: D048002E 00028341
	v_add3_u32 v16, v65, v19, 1                                // 00000000477C: D1FF0010 02062741
	v_cndmask_b32_e64 v5, v16, v18, s[46:47]                   // 000000004784: D1000005 00BA2510
	v_perm_b32 v60, v5, v4, s52                                // 00000000478C: D1ED003C 00D20905
	v_cmp_u_f32_e64 s[46:47], v66, v66                         // 000000004794: D048002E 00028542
	v_add3_u32 v16, v66, v19, 1                                // 00000000479C: D1FF0010 02062742
	v_cndmask_b32_e64 v4, v16, v18, s[46:47]                   // 0000000047A4: D1000004 00BA2510
	v_cmp_u_f32_e64 s[46:47], v67, v67                         // 0000000047AC: D048002E 00028743
	v_add3_u32 v16, v67, v19, 1                                // 0000000047B4: D1FF0010 02062743
	v_cndmask_b32_e64 v5, v16, v18, s[46:47]                   // 0000000047BC: D1000005 00BA2510
	v_perm_b32 v61, v5, v4, s52                                // 0000000047C4: D1ED003D 00D20905
	v_cmp_u_f32_e64 s[46:47], v68, v68                         // 0000000047CC: D048002E 00028944
	v_add3_u32 v16, v68, v19, 1                                // 0000000047D4: D1FF0010 02062744
	v_cndmask_b32_e64 v4, v16, v18, s[46:47]                   // 0000000047DC: D1000004 00BA2510
	v_cmp_u_f32_e64 s[46:47], v69, v69                         // 0000000047E4: D048002E 00028B45
	v_add3_u32 v16, v69, v19, 1                                // 0000000047EC: D1FF0010 02062745
	v_cndmask_b32_e64 v5, v16, v18, s[46:47]                   // 0000000047F4: D1000005 00BA2510
	v_perm_b32 v62, v5, v4, s52                                // 0000000047FC: D1ED003E 00D20905
	v_cmp_u_f32_e64 s[46:47], v70, v70                         // 000000004804: D048002E 00028D46
	v_add3_u32 v16, v70, v19, 1                                // 00000000480C: D1FF0010 02062746
	v_cndmask_b32_e64 v4, v16, v18, s[46:47]                   // 000000004814: D1000004 00BA2510
	v_cmp_u_f32_e64 s[46:47], v71, v71                         // 00000000481C: D048002E 00028F47
	v_add3_u32 v16, v71, v19, 1                                // 000000004824: D1FF0010 02062747
	v_cndmask_b32_e64 v5, v16, v18, s[46:47]                   // 00000000482C: D1000005 00BA2510
	v_perm_b32 v63, v5, v4, s52                                // 000000004834: D1ED003F 00D20905
	v_cmp_u_f32_e64 s[46:47], v72, v72                         // 00000000483C: D048002E 00029148
	v_add3_u32 v16, v72, v19, 1                                // 000000004844: D1FF0010 02062748
	v_cndmask_b32_e64 v4, v16, v18, s[46:47]                   // 00000000484C: D1000004 00BA2510
	v_cmp_u_f32_e64 s[46:47], v73, v73                         // 000000004854: D048002E 00029349
	v_add3_u32 v16, v73, v19, 1                                // 00000000485C: D1FF0010 02062749
	v_cndmask_b32_e64 v5, v16, v18, s[46:47]                   // 000000004864: D1000005 00BA2510
	v_perm_b32 v64, v5, v4, s52                                // 00000000486C: D1ED0040 00D20905
	v_cmp_u_f32_e64 s[46:47], v74, v74                         // 000000004874: D048002E 0002954A
	v_add3_u32 v16, v74, v19, 1                                // 00000000487C: D1FF0010 0206274A
	v_cndmask_b32_e64 v4, v16, v18, s[46:47]                   // 000000004884: D1000004 00BA2510
	v_cmp_u_f32_e64 s[46:47], v75, v75                         // 00000000488C: D048002E 0002974B
	v_add3_u32 v16, v75, v19, 1                                // 000000004894: D1FF0010 0206274B
	v_cndmask_b32_e64 v5, v16, v18, s[46:47]                   // 00000000489C: D1000005 00BA2510
	v_perm_b32 v65, v5, v4, s52                                // 0000000048A4: D1ED0041 00D20905
	v_cmp_u_f32_e64 s[46:47], v76, v76                         // 0000000048AC: D048002E 0002994C
	v_add3_u32 v16, v76, v19, 1                                // 0000000048B4: D1FF0010 0206274C
	v_cndmask_b32_e64 v4, v16, v18, s[46:47]                   // 0000000048BC: D1000004 00BA2510
	v_cmp_u_f32_e64 s[46:47], v77, v77                         // 0000000048C4: D048002E 00029B4D
	v_add3_u32 v16, v77, v19, 1                                // 0000000048CC: D1FF0010 0206274D
	v_cndmask_b32_e64 v5, v16, v18, s[46:47]                   // 0000000048D4: D1000005 00BA2510
	v_perm_b32 v66, v5, v4, s52                                // 0000000048DC: D1ED0042 00D20905
	v_cmp_u_f32_e64 s[46:47], v78, v78                         // 0000000048E4: D048002E 00029D4E
	v_add3_u32 v16, v78, v19, 1                                // 0000000048EC: D1FF0010 0206274E
	v_cndmask_b32_e64 v4, v16, v18, s[46:47]                   // 0000000048F4: D1000004 00BA2510
	v_cmp_u_f32_e64 s[46:47], v79, v79                         // 0000000048FC: D048002E 00029F4F
	v_add3_u32 v16, v79, v19, 1                                // 000000004904: D1FF0010 0206274F
	v_cndmask_b32_e64 v5, v16, v18, s[46:47]                   // 00000000490C: D1000005 00BA2510
	v_perm_b32 v67, v5, v4, s52                                // 000000004914: D1ED0043 00D20905
	v_cmp_u_f32_e64 s[46:47], v80, v80                         // 00000000491C: D048002E 0002A150
	v_add3_u32 v16, v80, v19, 1                                // 000000004924: D1FF0010 02062750
	v_cndmask_b32_e64 v4, v16, v18, s[46:47]                   // 00000000492C: D1000004 00BA2510
	v_cmp_u_f32_e64 s[46:47], v81, v81                         // 000000004934: D048002E 0002A351
	v_add3_u32 v16, v81, v19, 1                                // 00000000493C: D1FF0010 02062751
	v_cndmask_b32_e64 v5, v16, v18, s[46:47]                   // 000000004944: D1000005 00BA2510
	v_perm_b32 v68, v5, v4, s52                                // 00000000494C: D1ED0044 00D20905
	v_cmp_u_f32_e64 s[46:47], v82, v82                         // 000000004954: D048002E 0002A552
	v_add3_u32 v16, v82, v19, 1                                // 00000000495C: D1FF0010 02062752
	v_cndmask_b32_e64 v4, v16, v18, s[46:47]                   // 000000004964: D1000004 00BA2510
	v_cmp_u_f32_e64 s[46:47], v83, v83                         // 00000000496C: D048002E 0002A753
	v_add3_u32 v16, v83, v19, 1                                // 000000004974: D1FF0010 02062753
	v_cndmask_b32_e64 v5, v16, v18, s[46:47]                   // 00000000497C: D1000005 00BA2510
	v_perm_b32 v69, v5, v4, s52                                // 000000004984: D1ED0045 00D20905
	v_cmp_u_f32_e64 s[46:47], v84, v84                         // 00000000498C: D048002E 0002A954
	v_add3_u32 v16, v84, v19, 1                                // 000000004994: D1FF0010 02062754
	v_cndmask_b32_e64 v4, v16, v18, s[46:47]                   // 00000000499C: D1000004 00BA2510
	v_cmp_u_f32_e64 s[46:47], v85, v85                         // 0000000049A4: D048002E 0002AB55
	v_add3_u32 v16, v85, v19, 1                                // 0000000049AC: D1FF0010 02062755
	v_cndmask_b32_e64 v5, v16, v18, s[46:47]                   // 0000000049B4: D1000005 00BA2510
	v_perm_b32 v70, v5, v4, s52                                // 0000000049BC: D1ED0046 00D20905
	v_cmp_u_f32_e64 s[46:47], v86, v86                         // 0000000049C4: D048002E 0002AD56
	v_add3_u32 v16, v86, v19, 1                                // 0000000049CC: D1FF0010 02062756
	v_cndmask_b32_e64 v4, v16, v18, s[46:47]                   // 0000000049D4: D1000004 00BA2510
	v_cmp_u_f32_e64 s[46:47], v87, v87                         // 0000000049DC: D048002E 0002AF57
	v_add3_u32 v16, v87, v19, 1                                // 0000000049E4: D1FF0010 02062757
	v_cndmask_b32_e64 v5, v16, v18, s[46:47]                   // 0000000049EC: D1000005 00BA2510
	v_perm_b32 v71, v5, v4, s52                                // 0000000049F4: D1ED0047 00D20905
	ds_write_b64 v20, v[56:57]                                 // 0000000049FC: D89A0000 00003814
	ds_write_b64 v20, v[58:59] offset:4352                     // 000000004A04: D89A1100 00003A14
	ds_write_b64 v20, v[60:61] offset:8704                     // 000000004A0C: D89A2200 00003C14
	ds_write_b64 v20, v[62:63] offset:13056                    // 000000004A14: D89A3300 00003E14
	ds_write_b64 v20, v[64:65] offset:2176                     // 000000004A1C: D89A0880 00004014
	ds_write_b64 v20, v[66:67] offset:6528                     // 000000004A24: D89A1980 00004214
	ds_write_b64 v20, v[68:69] offset:10880                    // 000000004A2C: D89A2A80 00004414
	ds_write_b64 v20, v[70:71] offset:15232                    // 000000004A34: D89A3B80 00004614
	v_lshrrev_b32_e32 v4, 5, v0                                // 000000004A3C: 20080085
	v_xor_b32_e32 v5, 1, v4                                    // 000000004A40: 2A0A0881
	s_mul_i32 s60, s65, 2                                      // 000000004A44: 923C8241
	s_cmp_eq_u32 s88, 0                                        // 000000004A48: BF068058
	s_cselect_b32 s61, 1, 4                                    // 000000004A4C: 853D8481
	s_mul_i32 s60, s61, s60                                    // 000000004A50: 923C3C3D
	v_readlane_b32 s82, v3, 0                                  // 000000004A54: D2890052 00010103
	s_lshr_b32 s61, s82, 24                                    // 000000004A5C: 8F3D9852
	s_and_b32 s82, s82, 0xffffff                               // 000000004A60: 8652FF52 00FFFFFF
	s_mul_i32 s82, s82, s71                                    // 000000004A68: 92524752
	s_mul_i32 s61, s60, s61                                    // 000000004A6C: 923D3D3C
	s_add_u32 s82, s82, s61                                    // 000000004A70: 80523D52
	v_mul_lo_u32 v6, v5, s82                                   // 000000004A74: D2850006 0000A505
	v_readlane_b32 s82, v3, 1                                  // 000000004A7C: D2890052 00010303
	s_lshr_b32 s61, s82, 24                                    // 000000004A84: 8F3D9852
	s_and_b32 s82, s82, 0xffffff                               // 000000004A88: 8652FF52 00FFFFFF
	s_mul_i32 s82, s82, s71                                    // 000000004A90: 92524752
	s_mul_i32 s61, s60, s61                                    // 000000004A94: 923D3D3C
	s_add_u32 s82, s82, s61                                    // 000000004A98: 80523D52
	v_mul_lo_u32 v7, v4, s82                                   // 000000004A9C: D2850007 0000A504
	v_add_u32_e32 v44, v6, v7                                  // 000000004AA4: 68580F06
	v_readlane_b32 s82, v3, 2                                  // 000000004AA8: D2890052 00010503
	s_lshr_b32 s61, s82, 24                                    // 000000004AB0: 8F3D9852
	s_and_b32 s82, s82, 0xffffff                               // 000000004AB4: 8652FF52 00FFFFFF
	s_mul_i32 s82, s82, s71                                    // 000000004ABC: 92524752
	s_mul_i32 s61, s60, s61                                    // 000000004AC0: 923D3D3C
	s_add_u32 s82, s82, s61                                    // 000000004AC4: 80523D52
	v_mul_lo_u32 v6, v5, s82                                   // 000000004AC8: D2850006 0000A505
	v_readlane_b32 s82, v3, 3                                  // 000000004AD0: D2890052 00010703
	s_lshr_b32 s61, s82, 24                                    // 000000004AD8: 8F3D9852
	s_and_b32 s82, s82, 0xffffff                               // 000000004ADC: 8652FF52 00FFFFFF
	s_mul_i32 s82, s82, s71                                    // 000000004AE4: 92524752
	s_mul_i32 s61, s60, s61                                    // 000000004AE8: 923D3D3C
	s_add_u32 s82, s82, s61                                    // 000000004AEC: 80523D52
	v_mul_lo_u32 v7, v4, s82                                   // 000000004AF0: D2850007 0000A504
	v_add_u32_e32 v45, v6, v7                                  // 000000004AF8: 685A0F06
	v_readlane_b32 s82, v3, 4                                  // 000000004AFC: D2890052 00010903
	s_lshr_b32 s61, s82, 24                                    // 000000004B04: 8F3D9852
	s_and_b32 s82, s82, 0xffffff                               // 000000004B08: 8652FF52 00FFFFFF
	s_mul_i32 s82, s82, s71                                    // 000000004B10: 92524752
	s_mul_i32 s61, s60, s61                                    // 000000004B14: 923D3D3C
	s_add_u32 s82, s82, s61                                    // 000000004B18: 80523D52
	v_mul_lo_u32 v6, v5, s82                                   // 000000004B1C: D2850006 0000A505
	v_readlane_b32 s82, v3, 5                                  // 000000004B24: D2890052 00010B03
	s_lshr_b32 s61, s82, 24                                    // 000000004B2C: 8F3D9852
	s_and_b32 s82, s82, 0xffffff                               // 000000004B30: 8652FF52 00FFFFFF
	s_mul_i32 s82, s82, s71                                    // 000000004B38: 92524752
	s_mul_i32 s61, s60, s61                                    // 000000004B3C: 923D3D3C
	s_add_u32 s82, s82, s61                                    // 000000004B40: 80523D52
	v_mul_lo_u32 v7, v4, s82                                   // 000000004B44: D2850007 0000A504
	v_add_u32_e32 v46, v6, v7                                  // 000000004B4C: 685C0F06
	v_readlane_b32 s82, v3, 6                                  // 000000004B50: D2890052 00010D03
	s_lshr_b32 s61, s82, 24                                    // 000000004B58: 8F3D9852
	s_and_b32 s82, s82, 0xffffff                               // 000000004B5C: 8652FF52 00FFFFFF
	s_mul_i32 s82, s82, s71                                    // 000000004B64: 92524752
	s_mul_i32 s61, s60, s61                                    // 000000004B68: 923D3D3C
	s_add_u32 s82, s82, s61                                    // 000000004B6C: 80523D52
	v_mul_lo_u32 v6, v5, s82                                   // 000000004B70: D2850006 0000A505
	v_readlane_b32 s82, v3, 7                                  // 000000004B78: D2890052 00010F03
	s_lshr_b32 s61, s82, 24                                    // 000000004B80: 8F3D9852
	s_and_b32 s82, s82, 0xffffff                               // 000000004B84: 8652FF52 00FFFFFF
	s_mul_i32 s82, s82, s71                                    // 000000004B8C: 92524752
	s_mul_i32 s61, s60, s61                                    // 000000004B90: 923D3D3C
	s_add_u32 s82, s82, s61                                    // 000000004B94: 80523D52
	v_mul_lo_u32 v7, v4, s82                                   // 000000004B98: D2850007 0000A504
	v_add_u32_e32 v47, v6, v7                                  // 000000004BA0: 685E0F06
	v_readlane_b32 s82, v3, 8                                  // 000000004BA4: D2890052 00011103
	s_lshr_b32 s61, s82, 24                                    // 000000004BAC: 8F3D9852
	s_and_b32 s82, s82, 0xffffff                               // 000000004BB0: 8652FF52 00FFFFFF
	s_mul_i32 s82, s82, s71                                    // 000000004BB8: 92524752
	s_mul_i32 s61, s60, s61                                    // 000000004BBC: 923D3D3C
	s_add_u32 s82, s82, s61                                    // 000000004BC0: 80523D52
	v_mul_lo_u32 v6, v5, s82                                   // 000000004BC4: D2850006 0000A505
	v_readlane_b32 s82, v3, 9                                  // 000000004BCC: D2890052 00011303
	s_lshr_b32 s61, s82, 24                                    // 000000004BD4: 8F3D9852
	s_and_b32 s82, s82, 0xffffff                               // 000000004BD8: 8652FF52 00FFFFFF
	s_mul_i32 s82, s82, s71                                    // 000000004BE0: 92524752
	s_mul_i32 s61, s60, s61                                    // 000000004BE4: 923D3D3C
	s_add_u32 s82, s82, s61                                    // 000000004BE8: 80523D52
	v_mul_lo_u32 v7, v4, s82                                   // 000000004BEC: D2850007 0000A504
	v_add_u32_e32 v48, v6, v7                                  // 000000004BF4: 68600F06
	v_readlane_b32 s82, v3, 10                                 // 000000004BF8: D2890052 00011503
	s_lshr_b32 s61, s82, 24                                    // 000000004C00: 8F3D9852
	s_and_b32 s82, s82, 0xffffff                               // 000000004C04: 8652FF52 00FFFFFF
	s_mul_i32 s82, s82, s71                                    // 000000004C0C: 92524752
	s_mul_i32 s61, s60, s61                                    // 000000004C10: 923D3D3C
	s_add_u32 s82, s82, s61                                    // 000000004C14: 80523D52
	v_mul_lo_u32 v6, v5, s82                                   // 000000004C18: D2850006 0000A505
	v_readlane_b32 s82, v3, 11                                 // 000000004C20: D2890052 00011703
	s_lshr_b32 s61, s82, 24                                    // 000000004C28: 8F3D9852
	s_and_b32 s82, s82, 0xffffff                               // 000000004C2C: 8652FF52 00FFFFFF
	s_mul_i32 s82, s82, s71                                    // 000000004C34: 92524752
	s_mul_i32 s61, s60, s61                                    // 000000004C38: 923D3D3C
	s_add_u32 s82, s82, s61                                    // 000000004C3C: 80523D52
	v_mul_lo_u32 v7, v4, s82                                   // 000000004C40: D2850007 0000A504
	v_add_u32_e32 v49, v6, v7                                  // 000000004C48: 68620F06
	v_readlane_b32 s82, v3, 12                                 // 000000004C4C: D2890052 00011903
	s_lshr_b32 s61, s82, 24                                    // 000000004C54: 8F3D9852
	s_and_b32 s82, s82, 0xffffff                               // 000000004C58: 8652FF52 00FFFFFF
	s_mul_i32 s82, s82, s71                                    // 000000004C60: 92524752
	s_mul_i32 s61, s60, s61                                    // 000000004C64: 923D3D3C
	s_add_u32 s82, s82, s61                                    // 000000004C68: 80523D52
	v_mul_lo_u32 v6, v5, s82                                   // 000000004C6C: D2850006 0000A505
	v_readlane_b32 s82, v3, 13                                 // 000000004C74: D2890052 00011B03
	s_lshr_b32 s61, s82, 24                                    // 000000004C7C: 8F3D9852
	s_and_b32 s82, s82, 0xffffff                               // 000000004C80: 8652FF52 00FFFFFF
	s_mul_i32 s82, s82, s71                                    // 000000004C88: 92524752
	s_mul_i32 s61, s60, s61                                    // 000000004C8C: 923D3D3C
	s_add_u32 s82, s82, s61                                    // 000000004C90: 80523D52
	v_mul_lo_u32 v7, v4, s82                                   // 000000004C94: D2850007 0000A504
	v_add_u32_e32 v50, v6, v7                                  // 000000004C9C: 68640F06
	v_readlane_b32 s82, v3, 14                                 // 000000004CA0: D2890052 00011D03
	s_lshr_b32 s61, s82, 24                                    // 000000004CA8: 8F3D9852
	s_and_b32 s82, s82, 0xffffff                               // 000000004CAC: 8652FF52 00FFFFFF
	s_mul_i32 s82, s82, s71                                    // 000000004CB4: 92524752
	s_mul_i32 s61, s60, s61                                    // 000000004CB8: 923D3D3C
	s_add_u32 s82, s82, s61                                    // 000000004CBC: 80523D52
	v_mul_lo_u32 v6, v5, s82                                   // 000000004CC0: D2850006 0000A505
	v_readlane_b32 s82, v3, 15                                 // 000000004CC8: D2890052 00011F03
	s_lshr_b32 s61, s82, 24                                    // 000000004CD0: 8F3D9852
	s_and_b32 s82, s82, 0xffffff                               // 000000004CD4: 8652FF52 00FFFFFF
	s_mul_i32 s82, s82, s71                                    // 000000004CDC: 92524752
	s_mul_i32 s61, s60, s61                                    // 000000004CE0: 923D3D3C
	s_add_u32 s82, s82, s61                                    // 000000004CE4: 80523D52
	v_mul_lo_u32 v7, v4, s82                                   // 000000004CE8: D2850007 0000A504
	v_add_u32_e32 v51, v6, v7                                  // 000000004CF0: 68660F06
	v_and_b32_e32 v4, 31, v0                                   // 000000004CF4: 2608009F
	v_lshrrev_b32_e32 v4, 1, v4                                // 000000004CF8: 20080881
	s_cmp_eq_u32 s88, 0                                        // 000000004CFC: BF068058
	s_cselect_b32 s61, 2, 4                                    // 000000004D00: 853D8482
	v_mul_lo_u32 v4, v4, s61                                   // 000000004D04: D2850004 00007B04
	v_and_b32_e64 v5, v0, 1                                    // 000000004D0C: D1130005 00010300
	v_add_u32_e32 v4, v4, v5                                   // 000000004D14: 68080B04
	v_lshlrev_b32_e32 v4, 2, v4                                // 000000004D18: 24080882
	v_add_u32_e32 v44, v44, v4                                 // 000000004D1C: 6858092C
	v_add_u32_e32 v45, v45, v4                                 // 000000004D20: 685A092D
	v_add_u32_e32 v46, v46, v4                                 // 000000004D24: 685C092E
	v_add_u32_e32 v47, v47, v4                                 // 000000004D28: 685E092F
	v_add_u32_e32 v48, v48, v4                                 // 000000004D2C: 68600930
	v_add_u32_e32 v49, v49, v4                                 // 000000004D30: 68620931
	v_add_u32_e32 v50, v50, v4                                 // 000000004D34: 68640932
	v_add_u32_e32 v51, v51, v4                                 // 000000004D38: 68660933
	s_waitcnt lgkmcnt(0)                                       // 000000004D3C: BF8CC07F
	s_barrier                                                  // 000000004D40: BF8A0000
	ds_read_b32 v56, v21                                       // 000000004D44: D86C0000 38000015
	ds_read_b32 v57, v21 offset:64                             // 000000004D4C: D86C0040 39000015
	ds_read_b32 v58, v21 offset:2176                           // 000000004D54: D86C0880 3A000015
	ds_read_b32 v59, v21 offset:2240                           // 000000004D5C: D86C08C0 3B000015
	ds_read_b32 v60, v21 offset:4352                           // 000000004D64: D86C1100 3C000015
	ds_read_b32 v61, v21 offset:4416                           // 000000004D6C: D86C1140 3D000015
	ds_read_b32 v62, v21 offset:6528                           // 000000004D74: D86C1980 3E000015
	ds_read_b32 v63, v21 offset:6592                           // 000000004D7C: D86C19C0 3F000015
	ds_read_b32 v64, v21 offset:8704                           // 000000004D84: D86C2200 40000015
	ds_read_b32 v65, v21 offset:8768                           // 000000004D8C: D86C2240 41000015
	ds_read_b32 v66, v21 offset:10880                          // 000000004D94: D86C2A80 42000015
	ds_read_b32 v67, v21 offset:10944                          // 000000004D9C: D86C2AC0 43000015
	ds_read_b32 v68, v21 offset:13056                          // 000000004DA4: D86C3300 44000015
	ds_read_b32 v69, v21 offset:13120                          // 000000004DAC: D86C3340 45000015
	ds_read_b32 v70, v21 offset:15232                          // 000000004DB4: D86C3B80 46000015
	ds_read_b32 v71, v21 offset:15296                          // 000000004DBC: D86C3BC0 47000015
	s_waitcnt lgkmcnt(0)                                       // 000000004DC4: BF8CC07F
	s_mov_b32 s36, -1                                          // 000000004DC8: BEA400C1
	s_mov_b32 s37, -1                                          // 000000004DCC: BEA500C1
	v_mov_b32_e32 v7, 0                                        // 000000004DD0: 7E0E0280
	s_or_b32 s9, s9, 0x40000                                   // 000000004DD4: 8709FF09 00040000
	s_mov_b64 exec, s[36:37]                                   // 000000004DDC: BEFE0124
	v_mov_b32_e32 v6, v44                                      // 000000004DE0: 7E0C032C
	s_mov_b64 s[60:61], 0                                      // 000000004DE4: BEBC0180
	v_readlane_b32 s82, v3, 0                                  // 000000004DE8: D2890052 00010103
	s_and_b32 s82, s82, 0xffffff                               // 000000004DF0: 8652FF52 00FFFFFF
	s_cmp_lt_u32 s82, s66                                      // 000000004DF8: BF0A4252
	s_cselect_b32 s20, s36, s60                                // 000000004DFC: 85143C24
	v_readlane_b32 s82, v3, 1                                  // 000000004E00: D2890052 00010303
	s_and_b32 s82, s82, 0xffffff                               // 000000004E08: 8652FF52 00FFFFFF
	s_cmp_lt_u32 s82, s66                                      // 000000004E10: BF0A4252
	s_cselect_b32 s21, s36, s60                                // 000000004E14: 85153C24
	s_mov_b64 exec, s[20:21]                                   // 000000004E18: BEFE0114
	buffer_store_dword v56, v6, s[8:11], 0 offen               // 000000004E1C: E0701000 80023806
	buffer_store_dword v58, v6, s[8:11], 0 offen offset:128    // 000000004E24: E0701080 80023A06
	s_mov_b64 exec, s[36:37]                                   // 000000004E2C: BEFE0124
	v_mov_b32_e32 v6, v45                                      // 000000004E30: 7E0C032D
	s_mov_b64 s[60:61], 0                                      // 000000004E34: BEBC0180
	v_readlane_b32 s82, v3, 2                                  // 000000004E38: D2890052 00010503
	s_and_b32 s82, s82, 0xffffff                               // 000000004E40: 8652FF52 00FFFFFF
	s_cmp_lt_u32 s82, s66                                      // 000000004E48: BF0A4252
	s_cselect_b32 s20, s36, s60                                // 000000004E4C: 85143C24
	v_readlane_b32 s82, v3, 3                                  // 000000004E50: D2890052 00010703
	s_and_b32 s82, s82, 0xffffff                               // 000000004E58: 8652FF52 00FFFFFF
	s_cmp_lt_u32 s82, s66                                      // 000000004E60: BF0A4252
	s_cselect_b32 s21, s36, s60                                // 000000004E64: 85153C24
	s_mov_b64 exec, s[20:21]                                   // 000000004E68: BEFE0114
	buffer_store_dword v57, v6, s[8:11], 0 offen               // 000000004E6C: E0701000 80023906
	buffer_store_dword v59, v6, s[8:11], 0 offen offset:128    // 000000004E74: E0701080 80023B06
	s_mov_b64 exec, s[36:37]                                   // 000000004E7C: BEFE0124
	v_mov_b32_e32 v6, v46                                      // 000000004E80: 7E0C032E
	s_mov_b64 s[60:61], 0                                      // 000000004E84: BEBC0180
	v_readlane_b32 s82, v3, 4                                  // 000000004E88: D2890052 00010903
	s_and_b32 s82, s82, 0xffffff                               // 000000004E90: 8652FF52 00FFFFFF
	s_cmp_lt_u32 s82, s66                                      // 000000004E98: BF0A4252
	s_cselect_b32 s20, s36, s60                                // 000000004E9C: 85143C24
	v_readlane_b32 s82, v3, 5                                  // 000000004EA0: D2890052 00010B03
	s_and_b32 s82, s82, 0xffffff                               // 000000004EA8: 8652FF52 00FFFFFF
	s_cmp_lt_u32 s82, s66                                      // 000000004EB0: BF0A4252
	s_cselect_b32 s21, s36, s60                                // 000000004EB4: 85153C24
	s_mov_b64 exec, s[20:21]                                   // 000000004EB8: BEFE0114
	buffer_store_dword v60, v6, s[8:11], 0 offen               // 000000004EBC: E0701000 80023C06
	buffer_store_dword v62, v6, s[8:11], 0 offen offset:128    // 000000004EC4: E0701080 80023E06
	s_mov_b64 exec, s[36:37]                                   // 000000004ECC: BEFE0124
	v_mov_b32_e32 v6, v47                                      // 000000004ED0: 7E0C032F
	s_mov_b64 s[60:61], 0                                      // 000000004ED4: BEBC0180
	v_readlane_b32 s82, v3, 6                                  // 000000004ED8: D2890052 00010D03
	s_and_b32 s82, s82, 0xffffff                               // 000000004EE0: 8652FF52 00FFFFFF
	s_cmp_lt_u32 s82, s66                                      // 000000004EE8: BF0A4252
	s_cselect_b32 s20, s36, s60                                // 000000004EEC: 85143C24
	v_readlane_b32 s82, v3, 7                                  // 000000004EF0: D2890052 00010F03
	s_and_b32 s82, s82, 0xffffff                               // 000000004EF8: 8652FF52 00FFFFFF
	s_cmp_lt_u32 s82, s66                                      // 000000004F00: BF0A4252
	s_cselect_b32 s21, s36, s60                                // 000000004F04: 85153C24
	s_mov_b64 exec, s[20:21]                                   // 000000004F08: BEFE0114
	buffer_store_dword v61, v6, s[8:11], 0 offen               // 000000004F0C: E0701000 80023D06
	buffer_store_dword v63, v6, s[8:11], 0 offen offset:128    // 000000004F14: E0701080 80023F06
	s_mov_b64 exec, s[36:37]                                   // 000000004F1C: BEFE0124
	v_mov_b32_e32 v6, v48                                      // 000000004F20: 7E0C0330
	s_mov_b64 s[60:61], 0                                      // 000000004F24: BEBC0180
	v_readlane_b32 s82, v3, 8                                  // 000000004F28: D2890052 00011103
	s_and_b32 s82, s82, 0xffffff                               // 000000004F30: 8652FF52 00FFFFFF
	s_cmp_lt_u32 s82, s66                                      // 000000004F38: BF0A4252
	s_cselect_b32 s20, s36, s60                                // 000000004F3C: 85143C24
	v_readlane_b32 s82, v3, 9                                  // 000000004F40: D2890052 00011303
	s_and_b32 s82, s82, 0xffffff                               // 000000004F48: 8652FF52 00FFFFFF
	s_cmp_lt_u32 s82, s66                                      // 000000004F50: BF0A4252
	s_cselect_b32 s21, s36, s60                                // 000000004F54: 85153C24
	s_mov_b64 exec, s[20:21]                                   // 000000004F58: BEFE0114
	buffer_store_dword v64, v6, s[8:11], 0 offen               // 000000004F5C: E0701000 80024006
	buffer_store_dword v66, v6, s[8:11], 0 offen offset:128    // 000000004F64: E0701080 80024206
	s_mov_b64 exec, s[36:37]                                   // 000000004F6C: BEFE0124
	v_mov_b32_e32 v6, v49                                      // 000000004F70: 7E0C0331
	s_mov_b64 s[60:61], 0                                      // 000000004F74: BEBC0180
	v_readlane_b32 s82, v3, 10                                 // 000000004F78: D2890052 00011503
	s_and_b32 s82, s82, 0xffffff                               // 000000004F80: 8652FF52 00FFFFFF
	s_cmp_lt_u32 s82, s66                                      // 000000004F88: BF0A4252
	s_cselect_b32 s20, s36, s60                                // 000000004F8C: 85143C24
	v_readlane_b32 s82, v3, 11                                 // 000000004F90: D2890052 00011703
	s_and_b32 s82, s82, 0xffffff                               // 000000004F98: 8652FF52 00FFFFFF
	s_cmp_lt_u32 s82, s66                                      // 000000004FA0: BF0A4252
	s_cselect_b32 s21, s36, s60                                // 000000004FA4: 85153C24
	s_mov_b64 exec, s[20:21]                                   // 000000004FA8: BEFE0114
	buffer_store_dword v65, v6, s[8:11], 0 offen               // 000000004FAC: E0701000 80024106
	buffer_store_dword v67, v6, s[8:11], 0 offen offset:128    // 000000004FB4: E0701080 80024306
	s_mov_b64 exec, s[36:37]                                   // 000000004FBC: BEFE0124
	v_mov_b32_e32 v6, v50                                      // 000000004FC0: 7E0C0332
	s_mov_b64 s[60:61], 0                                      // 000000004FC4: BEBC0180
	v_readlane_b32 s82, v3, 12                                 // 000000004FC8: D2890052 00011903
	s_and_b32 s82, s82, 0xffffff                               // 000000004FD0: 8652FF52 00FFFFFF
	s_cmp_lt_u32 s82, s66                                      // 000000004FD8: BF0A4252
	s_cselect_b32 s20, s36, s60                                // 000000004FDC: 85143C24
	v_readlane_b32 s82, v3, 13                                 // 000000004FE0: D2890052 00011B03
	s_and_b32 s82, s82, 0xffffff                               // 000000004FE8: 8652FF52 00FFFFFF
	s_cmp_lt_u32 s82, s66                                      // 000000004FF0: BF0A4252
	s_cselect_b32 s21, s36, s60                                // 000000004FF4: 85153C24
	s_mov_b64 exec, s[20:21]                                   // 000000004FF8: BEFE0114
	buffer_store_dword v68, v6, s[8:11], 0 offen               // 000000004FFC: E0701000 80024406
	buffer_store_dword v70, v6, s[8:11], 0 offen offset:128    // 000000005004: E0701080 80024606
	s_mov_b64 exec, s[36:37]                                   // 00000000500C: BEFE0124
	v_mov_b32_e32 v6, v51                                      // 000000005010: 7E0C0333
	s_mov_b64 s[60:61], 0                                      // 000000005014: BEBC0180
	v_readlane_b32 s82, v3, 14                                 // 000000005018: D2890052 00011D03
	s_and_b32 s82, s82, 0xffffff                               // 000000005020: 8652FF52 00FFFFFF
	s_cmp_lt_u32 s82, s66                                      // 000000005028: BF0A4252
	s_cselect_b32 s20, s36, s60                                // 00000000502C: 85143C24
	v_readlane_b32 s82, v3, 15                                 // 000000005030: D2890052 00011F03
	s_and_b32 s82, s82, 0xffffff                               // 000000005038: 8652FF52 00FFFFFF
	s_cmp_lt_u32 s82, s66                                      // 000000005040: BF0A4252
	s_cselect_b32 s21, s36, s60                                // 000000005044: 85153C24
	s_mov_b64 exec, s[20:21]                                   // 000000005048: BEFE0114
	buffer_store_dword v69, v6, s[8:11], 0 offen               // 00000000504C: E0701000 80024506
	buffer_store_dword v71, v6, s[8:11], 0 offen offset:128    // 000000005054: E0701080 80024706
	s_mov_b64 exec, s[36:37]                                   // 00000000505C: BEFE0124
	s_branch label_190C                                        // 000000005060: BF820F70

0000000000005064 <label_0999>:
	ds_write_b64 v20, v[56:57]                                 // 000000005064: D89A0000 00003814
	ds_write_b64 v20, v[60:61] offset:4352                     // 00000000506C: D89A1100 00003C14
	ds_write_b64 v20, v[64:65] offset:8704                     // 000000005074: D89A2200 00004014
	ds_write_b64 v20, v[68:69] offset:13056                    // 00000000507C: D89A3300 00004414
	ds_write_b64 v20, v[72:73] offset:2176                     // 000000005084: D89A0880 00004814
	ds_write_b64 v20, v[76:77] offset:6528                     // 00000000508C: D89A1980 00004C14
	ds_write_b64 v20, v[80:81] offset:10880                    // 000000005094: D89A2A80 00005014
	ds_write_b64 v20, v[84:85] offset:15232                    // 00000000509C: D89A3B80 00005414
	v_lshrrev_b32_e32 v4, 5, v0                                // 0000000050A4: 20080085
	v_xor_b32_e32 v5, 1, v4                                    // 0000000050A8: 2A0A0881
	s_mul_i32 s60, s65, 2                                      // 0000000050AC: 923C8241
	s_cmp_eq_u32 s88, 0                                        // 0000000050B0: BF068058
	s_cselect_b32 s61, 1, 4                                    // 0000000050B4: 853D8481
	s_mul_i32 s60, s61, s60                                    // 0000000050B8: 923C3C3D
	v_readlane_b32 s82, v3, 0                                  // 0000000050BC: D2890052 00010103
	s_lshr_b32 s61, s82, 24                                    // 0000000050C4: 8F3D9852
	s_and_b32 s82, s82, 0xffffff                               // 0000000050C8: 8652FF52 00FFFFFF
	s_mul_i32 s82, s82, s71                                    // 0000000050D0: 92524752
	s_mul_i32 s61, s60, s61                                    // 0000000050D4: 923D3D3C
	s_add_u32 s82, s82, s61                                    // 0000000050D8: 80523D52
	v_mul_lo_u32 v6, v5, s82                                   // 0000000050DC: D2850006 0000A505
	v_readlane_b32 s82, v3, 1                                  // 0000000050E4: D2890052 00010303
	s_lshr_b32 s61, s82, 24                                    // 0000000050EC: 8F3D9852
	s_and_b32 s82, s82, 0xffffff                               // 0000000050F0: 8652FF52 00FFFFFF
	s_mul_i32 s82, s82, s71                                    // 0000000050F8: 92524752
	s_mul_i32 s61, s60, s61                                    // 0000000050FC: 923D3D3C
	s_add_u32 s82, s82, s61                                    // 000000005100: 80523D52
	v_mul_lo_u32 v7, v4, s82                                   // 000000005104: D2850007 0000A504
	v_add_u32_e32 v44, v6, v7                                  // 00000000510C: 68580F06
	v_readlane_b32 s82, v3, 2                                  // 000000005110: D2890052 00010503
	s_lshr_b32 s61, s82, 24                                    // 000000005118: 8F3D9852
	s_and_b32 s82, s82, 0xffffff                               // 00000000511C: 8652FF52 00FFFFFF
	s_mul_i32 s82, s82, s71                                    // 000000005124: 92524752
	s_mul_i32 s61, s60, s61                                    // 000000005128: 923D3D3C
	s_add_u32 s82, s82, s61                                    // 00000000512C: 80523D52
	v_mul_lo_u32 v6, v5, s82                                   // 000000005130: D2850006 0000A505
	v_readlane_b32 s82, v3, 3                                  // 000000005138: D2890052 00010703
	s_lshr_b32 s61, s82, 24                                    // 000000005140: 8F3D9852
	s_and_b32 s82, s82, 0xffffff                               // 000000005144: 8652FF52 00FFFFFF
	s_mul_i32 s82, s82, s71                                    // 00000000514C: 92524752
	s_mul_i32 s61, s60, s61                                    // 000000005150: 923D3D3C
	s_add_u32 s82, s82, s61                                    // 000000005154: 80523D52
	v_mul_lo_u32 v7, v4, s82                                   // 000000005158: D2850007 0000A504
	v_add_u32_e32 v45, v6, v7                                  // 000000005160: 685A0F06
	v_readlane_b32 s82, v3, 4                                  // 000000005164: D2890052 00010903
	s_lshr_b32 s61, s82, 24                                    // 00000000516C: 8F3D9852
	s_and_b32 s82, s82, 0xffffff                               // 000000005170: 8652FF52 00FFFFFF
	s_mul_i32 s82, s82, s71                                    // 000000005178: 92524752
	s_mul_i32 s61, s60, s61                                    // 00000000517C: 923D3D3C
	s_add_u32 s82, s82, s61                                    // 000000005180: 80523D52
	v_mul_lo_u32 v6, v5, s82                                   // 000000005184: D2850006 0000A505
	v_readlane_b32 s82, v3, 5                                  // 00000000518C: D2890052 00010B03
	s_lshr_b32 s61, s82, 24                                    // 000000005194: 8F3D9852
	s_and_b32 s82, s82, 0xffffff                               // 000000005198: 8652FF52 00FFFFFF
	s_mul_i32 s82, s82, s71                                    // 0000000051A0: 92524752
	s_mul_i32 s61, s60, s61                                    // 0000000051A4: 923D3D3C
	s_add_u32 s82, s82, s61                                    // 0000000051A8: 80523D52
	v_mul_lo_u32 v7, v4, s82                                   // 0000000051AC: D2850007 0000A504
	v_add_u32_e32 v46, v6, v7                                  // 0000000051B4: 685C0F06
	v_readlane_b32 s82, v3, 6                                  // 0000000051B8: D2890052 00010D03
	s_lshr_b32 s61, s82, 24                                    // 0000000051C0: 8F3D9852
	s_and_b32 s82, s82, 0xffffff                               // 0000000051C4: 8652FF52 00FFFFFF
	s_mul_i32 s82, s82, s71                                    // 0000000051CC: 92524752
	s_mul_i32 s61, s60, s61                                    // 0000000051D0: 923D3D3C
	s_add_u32 s82, s82, s61                                    // 0000000051D4: 80523D52
	v_mul_lo_u32 v6, v5, s82                                   // 0000000051D8: D2850006 0000A505
	v_readlane_b32 s82, v3, 7                                  // 0000000051E0: D2890052 00010F03
	s_lshr_b32 s61, s82, 24                                    // 0000000051E8: 8F3D9852
	s_and_b32 s82, s82, 0xffffff                               // 0000000051EC: 8652FF52 00FFFFFF
	s_mul_i32 s82, s82, s71                                    // 0000000051F4: 92524752
	s_mul_i32 s61, s60, s61                                    // 0000000051F8: 923D3D3C
	s_add_u32 s82, s82, s61                                    // 0000000051FC: 80523D52
	v_mul_lo_u32 v7, v4, s82                                   // 000000005200: D2850007 0000A504
	v_add_u32_e32 v47, v6, v7                                  // 000000005208: 685E0F06
	v_readlane_b32 s82, v3, 8                                  // 00000000520C: D2890052 00011103
	s_lshr_b32 s61, s82, 24                                    // 000000005214: 8F3D9852
	s_and_b32 s82, s82, 0xffffff                               // 000000005218: 8652FF52 00FFFFFF
	s_mul_i32 s82, s82, s71                                    // 000000005220: 92524752
	s_mul_i32 s61, s60, s61                                    // 000000005224: 923D3D3C
	s_add_u32 s82, s82, s61                                    // 000000005228: 80523D52
	v_mul_lo_u32 v6, v5, s82                                   // 00000000522C: D2850006 0000A505
	v_readlane_b32 s82, v3, 9                                  // 000000005234: D2890052 00011303
	s_lshr_b32 s61, s82, 24                                    // 00000000523C: 8F3D9852
	s_and_b32 s82, s82, 0xffffff                               // 000000005240: 8652FF52 00FFFFFF
	s_mul_i32 s82, s82, s71                                    // 000000005248: 92524752
	s_mul_i32 s61, s60, s61                                    // 00000000524C: 923D3D3C
	s_add_u32 s82, s82, s61                                    // 000000005250: 80523D52
	v_mul_lo_u32 v7, v4, s82                                   // 000000005254: D2850007 0000A504
	v_add_u32_e32 v48, v6, v7                                  // 00000000525C: 68600F06
	v_readlane_b32 s82, v3, 10                                 // 000000005260: D2890052 00011503
	s_lshr_b32 s61, s82, 24                                    // 000000005268: 8F3D9852
	s_and_b32 s82, s82, 0xffffff                               // 00000000526C: 8652FF52 00FFFFFF
	s_mul_i32 s82, s82, s71                                    // 000000005274: 92524752
	s_mul_i32 s61, s60, s61                                    // 000000005278: 923D3D3C
	s_add_u32 s82, s82, s61                                    // 00000000527C: 80523D52
	v_mul_lo_u32 v6, v5, s82                                   // 000000005280: D2850006 0000A505
	v_readlane_b32 s82, v3, 11                                 // 000000005288: D2890052 00011703
	s_lshr_b32 s61, s82, 24                                    // 000000005290: 8F3D9852
	s_and_b32 s82, s82, 0xffffff                               // 000000005294: 8652FF52 00FFFFFF
	s_mul_i32 s82, s82, s71                                    // 00000000529C: 92524752
	s_mul_i32 s61, s60, s61                                    // 0000000052A0: 923D3D3C
	s_add_u32 s82, s82, s61                                    // 0000000052A4: 80523D52
	v_mul_lo_u32 v7, v4, s82                                   // 0000000052A8: D2850007 0000A504
	v_add_u32_e32 v49, v6, v7                                  // 0000000052B0: 68620F06
	v_readlane_b32 s82, v3, 12                                 // 0000000052B4: D2890052 00011903
	s_lshr_b32 s61, s82, 24                                    // 0000000052BC: 8F3D9852
	s_and_b32 s82, s82, 0xffffff                               // 0000000052C0: 8652FF52 00FFFFFF
	s_mul_i32 s82, s82, s71                                    // 0000000052C8: 92524752
	s_mul_i32 s61, s60, s61                                    // 0000000052CC: 923D3D3C
	s_add_u32 s82, s82, s61                                    // 0000000052D0: 80523D52
	v_mul_lo_u32 v6, v5, s82                                   // 0000000052D4: D2850006 0000A505
	v_readlane_b32 s82, v3, 13                                 // 0000000052DC: D2890052 00011B03
	s_lshr_b32 s61, s82, 24                                    // 0000000052E4: 8F3D9852
	s_and_b32 s82, s82, 0xffffff                               // 0000000052E8: 8652FF52 00FFFFFF
	s_mul_i32 s82, s82, s71                                    // 0000000052F0: 92524752
	s_mul_i32 s61, s60, s61                                    // 0000000052F4: 923D3D3C
	s_add_u32 s82, s82, s61                                    // 0000000052F8: 80523D52
	v_mul_lo_u32 v7, v4, s82                                   // 0000000052FC: D2850007 0000A504
	v_add_u32_e32 v50, v6, v7                                  // 000000005304: 68640F06
	v_readlane_b32 s82, v3, 14                                 // 000000005308: D2890052 00011D03
	s_lshr_b32 s61, s82, 24                                    // 000000005310: 8F3D9852
	s_and_b32 s82, s82, 0xffffff                               // 000000005314: 8652FF52 00FFFFFF
	s_mul_i32 s82, s82, s71                                    // 00000000531C: 92524752
	s_mul_i32 s61, s60, s61                                    // 000000005320: 923D3D3C
	s_add_u32 s82, s82, s61                                    // 000000005324: 80523D52
	v_mul_lo_u32 v6, v5, s82                                   // 000000005328: D2850006 0000A505
	v_readlane_b32 s82, v3, 15                                 // 000000005330: D2890052 00011F03
	s_lshr_b32 s61, s82, 24                                    // 000000005338: 8F3D9852
	s_and_b32 s82, s82, 0xffffff                               // 00000000533C: 8652FF52 00FFFFFF
	s_mul_i32 s82, s82, s71                                    // 000000005344: 92524752
	s_mul_i32 s61, s60, s61                                    // 000000005348: 923D3D3C
	s_add_u32 s82, s82, s61                                    // 00000000534C: 80523D52
	v_mul_lo_u32 v7, v4, s82                                   // 000000005350: D2850007 0000A504
	v_add_u32_e32 v51, v6, v7                                  // 000000005358: 68660F06
	v_and_b32_e32 v4, 31, v0                                   // 00000000535C: 2608009F
	v_lshrrev_b32_e32 v4, 1, v4                                // 000000005360: 20080881
	s_cmp_eq_u32 s88, 0                                        // 000000005364: BF068058
	s_cselect_b32 s61, 2, 4                                    // 000000005368: 853D8482
	v_mul_lo_u32 v4, v4, s61                                   // 00000000536C: D2850004 00007B04
	v_and_b32_e64 v5, v0, 1                                    // 000000005374: D1130005 00010300
	v_add_u32_e32 v4, v4, v5                                   // 00000000537C: 68080B04
	v_lshlrev_b32_e32 v4, 2, v4                                // 000000005380: 24080882
	v_add_u32_e32 v44, v44, v4                                 // 000000005384: 6858092C
	v_add_u32_e32 v45, v45, v4                                 // 000000005388: 685A092D
	v_add_u32_e32 v46, v46, v4                                 // 00000000538C: 685C092E
	v_add_u32_e32 v47, v47, v4                                 // 000000005390: 685E092F
	v_add_u32_e32 v48, v48, v4                                 // 000000005394: 68600930
	v_add_u32_e32 v49, v49, v4                                 // 000000005398: 68620931
	v_add_u32_e32 v50, v50, v4                                 // 00000000539C: 68640932
	v_add_u32_e32 v51, v51, v4                                 // 0000000053A0: 68660933
	s_waitcnt lgkmcnt(0)                                       // 0000000053A4: BF8CC07F
	s_barrier                                                  // 0000000053A8: BF8A0000
	ds_read_b32 v56, v21                                       // 0000000053AC: D86C0000 38000015
	ds_read_b32 v57, v21 offset:64                             // 0000000053B4: D86C0040 39000015
	ds_read_b32 v60, v21 offset:2176                           // 0000000053BC: D86C0880 3C000015
	ds_read_b32 v61, v21 offset:2240                           // 0000000053C4: D86C08C0 3D000015
	ds_read_b32 v64, v21 offset:4352                           // 0000000053CC: D86C1100 40000015
	ds_read_b32 v65, v21 offset:4416                           // 0000000053D4: D86C1140 41000015
	ds_read_b32 v68, v21 offset:6528                           // 0000000053DC: D86C1980 44000015
	ds_read_b32 v69, v21 offset:6592                           // 0000000053E4: D86C19C0 45000015
	ds_read_b32 v72, v21 offset:8704                           // 0000000053EC: D86C2200 48000015
	ds_read_b32 v73, v21 offset:8768                           // 0000000053F4: D86C2240 49000015
	ds_read_b32 v76, v21 offset:10880                          // 0000000053FC: D86C2A80 4C000015
	ds_read_b32 v77, v21 offset:10944                          // 000000005404: D86C2AC0 4D000015
	ds_read_b32 v80, v21 offset:13056                          // 00000000540C: D86C3300 50000015
	ds_read_b32 v81, v21 offset:13120                          // 000000005414: D86C3340 51000015
	ds_read_b32 v84, v21 offset:15232                          // 00000000541C: D86C3B80 54000015
	ds_read_b32 v85, v21 offset:15296                          // 000000005424: D86C3BC0 55000015
	s_waitcnt lgkmcnt(0)                                       // 00000000542C: BF8CC07F
	s_mov_b32 s36, -1                                          // 000000005430: BEA400C1
	s_mov_b32 s37, -1                                          // 000000005434: BEA500C1
	v_mov_b32_e32 v7, 0                                        // 000000005438: 7E0E0280
	s_mov_b64 exec, s[36:37]                                   // 00000000543C: BEFE0124
	v_mov_b32_e32 v6, v44                                      // 000000005440: 7E0C032C
	s_mov_b64 s[60:61], 0                                      // 000000005444: BEBC0180
	v_readlane_b32 s82, v3, 0                                  // 000000005448: D2890052 00010103
	s_and_b32 s82, s82, 0xffffff                               // 000000005450: 8652FF52 00FFFFFF
	s_cmp_lt_u32 s82, s66                                      // 000000005458: BF0A4252
	s_cselect_b32 s20, s36, s60                                // 00000000545C: 85143C24
	v_readlane_b32 s82, v3, 1                                  // 000000005460: D2890052 00010303
	s_and_b32 s82, s82, 0xffffff                               // 000000005468: 8652FF52 00FFFFFF
	s_cmp_lt_u32 s82, s66                                      // 000000005470: BF0A4252
	s_cselect_b32 s21, s36, s60                                // 000000005474: 85153C24
	s_mov_b64 exec, s[20:21]                                   // 000000005478: BEFE0114
	global_atomic_add_f32 v6, v56, s[8:9]                      // 00000000547C: DD348000 00083806
	global_atomic_add_f32 v6, v60, s[8:9] offset:256           // 000000005484: DD348100 00083C06
	s_mov_b64 exec, s[36:37]                                   // 00000000548C: BEFE0124
	v_mov_b32_e32 v6, v45                                      // 000000005490: 7E0C032D
	s_mov_b64 s[60:61], 0                                      // 000000005494: BEBC0180
	v_readlane_b32 s82, v3, 2                                  // 000000005498: D2890052 00010503
	s_and_b32 s82, s82, 0xffffff                               // 0000000054A0: 8652FF52 00FFFFFF
	s_cmp_lt_u32 s82, s66                                      // 0000000054A8: BF0A4252
	s_cselect_b32 s20, s36, s60                                // 0000000054AC: 85143C24
	v_readlane_b32 s82, v3, 3                                  // 0000000054B0: D2890052 00010703
	s_and_b32 s82, s82, 0xffffff                               // 0000000054B8: 8652FF52 00FFFFFF
	s_cmp_lt_u32 s82, s66                                      // 0000000054C0: BF0A4252
	s_cselect_b32 s21, s36, s60                                // 0000000054C4: 85153C24
	s_mov_b64 exec, s[20:21]                                   // 0000000054C8: BEFE0114
	global_atomic_add_f32 v6, v57, s[8:9]                      // 0000000054CC: DD348000 00083906
	global_atomic_add_f32 v6, v61, s[8:9] offset:256           // 0000000054D4: DD348100 00083D06
	s_mov_b64 exec, s[36:37]                                   // 0000000054DC: BEFE0124
	v_mov_b32_e32 v6, v46                                      // 0000000054E0: 7E0C032E
	s_mov_b64 s[60:61], 0                                      // 0000000054E4: BEBC0180
	v_readlane_b32 s82, v3, 4                                  // 0000000054E8: D2890052 00010903
	s_and_b32 s82, s82, 0xffffff                               // 0000000054F0: 8652FF52 00FFFFFF
	s_cmp_lt_u32 s82, s66                                      // 0000000054F8: BF0A4252
	s_cselect_b32 s20, s36, s60                                // 0000000054FC: 85143C24
	v_readlane_b32 s82, v3, 5                                  // 000000005500: D2890052 00010B03
	s_and_b32 s82, s82, 0xffffff                               // 000000005508: 8652FF52 00FFFFFF
	s_cmp_lt_u32 s82, s66                                      // 000000005510: BF0A4252
	s_cselect_b32 s21, s36, s60                                // 000000005514: 85153C24
	s_mov_b64 exec, s[20:21]                                   // 000000005518: BEFE0114
	global_atomic_add_f32 v6, v64, s[8:9]                      // 00000000551C: DD348000 00084006
	global_atomic_add_f32 v6, v68, s[8:9] offset:256           // 000000005524: DD348100 00084406
	s_mov_b64 exec, s[36:37]                                   // 00000000552C: BEFE0124
	v_mov_b32_e32 v6, v47                                      // 000000005530: 7E0C032F
	s_mov_b64 s[60:61], 0                                      // 000000005534: BEBC0180
	v_readlane_b32 s82, v3, 6                                  // 000000005538: D2890052 00010D03
	s_and_b32 s82, s82, 0xffffff                               // 000000005540: 8652FF52 00FFFFFF
	s_cmp_lt_u32 s82, s66                                      // 000000005548: BF0A4252
	s_cselect_b32 s20, s36, s60                                // 00000000554C: 85143C24
	v_readlane_b32 s82, v3, 7                                  // 000000005550: D2890052 00010F03
	s_and_b32 s82, s82, 0xffffff                               // 000000005558: 8652FF52 00FFFFFF
	s_cmp_lt_u32 s82, s66                                      // 000000005560: BF0A4252
	s_cselect_b32 s21, s36, s60                                // 000000005564: 85153C24
	s_mov_b64 exec, s[20:21]                                   // 000000005568: BEFE0114
	global_atomic_add_f32 v6, v65, s[8:9]                      // 00000000556C: DD348000 00084106
	global_atomic_add_f32 v6, v69, s[8:9] offset:256           // 000000005574: DD348100 00084506
	s_mov_b64 exec, s[36:37]                                   // 00000000557C: BEFE0124
	v_mov_b32_e32 v6, v48                                      // 000000005580: 7E0C0330
	s_mov_b64 s[60:61], 0                                      // 000000005584: BEBC0180
	v_readlane_b32 s82, v3, 8                                  // 000000005588: D2890052 00011103
	s_and_b32 s82, s82, 0xffffff                               // 000000005590: 8652FF52 00FFFFFF
	s_cmp_lt_u32 s82, s66                                      // 000000005598: BF0A4252
	s_cselect_b32 s20, s36, s60                                // 00000000559C: 85143C24
	v_readlane_b32 s82, v3, 9                                  // 0000000055A0: D2890052 00011303
	s_and_b32 s82, s82, 0xffffff                               // 0000000055A8: 8652FF52 00FFFFFF
	s_cmp_lt_u32 s82, s66                                      // 0000000055B0: BF0A4252
	s_cselect_b32 s21, s36, s60                                // 0000000055B4: 85153C24
	s_mov_b64 exec, s[20:21]                                   // 0000000055B8: BEFE0114
	global_atomic_add_f32 v6, v72, s[8:9]                      // 0000000055BC: DD348000 00084806
	global_atomic_add_f32 v6, v76, s[8:9] offset:256           // 0000000055C4: DD348100 00084C06
	s_mov_b64 exec, s[36:37]                                   // 0000000055CC: BEFE0124
	v_mov_b32_e32 v6, v49                                      // 0000000055D0: 7E0C0331
	s_mov_b64 s[60:61], 0                                      // 0000000055D4: BEBC0180
	v_readlane_b32 s82, v3, 10                                 // 0000000055D8: D2890052 00011503
	s_and_b32 s82, s82, 0xffffff                               // 0000000055E0: 8652FF52 00FFFFFF
	s_cmp_lt_u32 s82, s66                                      // 0000000055E8: BF0A4252
	s_cselect_b32 s20, s36, s60                                // 0000000055EC: 85143C24
	v_readlane_b32 s82, v3, 11                                 // 0000000055F0: D2890052 00011703
	s_and_b32 s82, s82, 0xffffff                               // 0000000055F8: 8652FF52 00FFFFFF
	s_cmp_lt_u32 s82, s66                                      // 000000005600: BF0A4252
	s_cselect_b32 s21, s36, s60                                // 000000005604: 85153C24
	s_mov_b64 exec, s[20:21]                                   // 000000005608: BEFE0114
	global_atomic_add_f32 v6, v73, s[8:9]                      // 00000000560C: DD348000 00084906
	global_atomic_add_f32 v6, v77, s[8:9] offset:256           // 000000005614: DD348100 00084D06
	s_mov_b64 exec, s[36:37]                                   // 00000000561C: BEFE0124
	v_mov_b32_e32 v6, v50                                      // 000000005620: 7E0C0332
	s_mov_b64 s[60:61], 0                                      // 000000005624: BEBC0180
	v_readlane_b32 s82, v3, 12                                 // 000000005628: D2890052 00011903
	s_and_b32 s82, s82, 0xffffff                               // 000000005630: 8652FF52 00FFFFFF
	s_cmp_lt_u32 s82, s66                                      // 000000005638: BF0A4252
	s_cselect_b32 s20, s36, s60                                // 00000000563C: 85143C24
	v_readlane_b32 s82, v3, 13                                 // 000000005640: D2890052 00011B03
	s_and_b32 s82, s82, 0xffffff                               // 000000005648: 8652FF52 00FFFFFF
	s_cmp_lt_u32 s82, s66                                      // 000000005650: BF0A4252
	s_cselect_b32 s21, s36, s60                                // 000000005654: 85153C24
	s_mov_b64 exec, s[20:21]                                   // 000000005658: BEFE0114
	global_atomic_add_f32 v6, v80, s[8:9]                      // 00000000565C: DD348000 00085006
	global_atomic_add_f32 v6, v84, s[8:9] offset:256           // 000000005664: DD348100 00085406
	s_mov_b64 exec, s[36:37]                                   // 00000000566C: BEFE0124
	v_mov_b32_e32 v6, v51                                      // 000000005670: 7E0C0333
	s_mov_b64 s[60:61], 0                                      // 000000005674: BEBC0180
	v_readlane_b32 s82, v3, 14                                 // 000000005678: D2890052 00011D03
	s_and_b32 s82, s82, 0xffffff                               // 000000005680: 8652FF52 00FFFFFF
	s_cmp_lt_u32 s82, s66                                      // 000000005688: BF0A4252
	s_cselect_b32 s20, s36, s60                                // 00000000568C: 85143C24
	v_readlane_b32 s82, v3, 15                                 // 000000005690: D2890052 00011F03
	s_and_b32 s82, s82, 0xffffff                               // 000000005698: 8652FF52 00FFFFFF
	s_cmp_lt_u32 s82, s66                                      // 0000000056A0: BF0A4252
	s_cselect_b32 s21, s36, s60                                // 0000000056A4: 85153C24
	s_mov_b64 exec, s[20:21]                                   // 0000000056A8: BEFE0114
	global_atomic_add_f32 v6, v81, s[8:9]                      // 0000000056AC: DD348000 00085106
	global_atomic_add_f32 v6, v85, s[8:9] offset:256           // 0000000056B4: DD348100 00085506
	s_mov_b64 exec, s[36:37]                                   // 0000000056BC: BEFE0124
	ds_write_b64 v20, v[58:59]                                 // 0000000056C0: D89A0000 00003A14
	ds_write_b64 v20, v[62:63] offset:4352                     // 0000000056C8: D89A1100 00003E14
	ds_write_b64 v20, v[66:67] offset:8704                     // 0000000056D0: D89A2200 00004214
	ds_write_b64 v20, v[70:71] offset:13056                    // 0000000056D8: D89A3300 00004614
	ds_write_b64 v20, v[74:75] offset:2176                     // 0000000056E0: D89A0880 00004A14
	ds_write_b64 v20, v[78:79] offset:6528                     // 0000000056E8: D89A1980 00004E14
	ds_write_b64 v20, v[82:83] offset:10880                    // 0000000056F0: D89A2A80 00005214
	ds_write_b64 v20, v[86:87] offset:15232                    // 0000000056F8: D89A3B80 00005614
	s_waitcnt lgkmcnt(0)                                       // 000000005700: BF8CC07F
	s_barrier                                                  // 000000005704: BF8A0000
	ds_read_b32 v58, v21                                       // 000000005708: D86C0000 3A000015
	ds_read_b32 v59, v21 offset:64                             // 000000005710: D86C0040 3B000015
	ds_read_b32 v62, v21 offset:2176                           // 000000005718: D86C0880 3E000015
	ds_read_b32 v63, v21 offset:2240                           // 000000005720: D86C08C0 3F000015
	ds_read_b32 v66, v21 offset:4352                           // 000000005728: D86C1100 42000015
	ds_read_b32 v67, v21 offset:4416                           // 000000005730: D86C1140 43000015
	ds_read_b32 v70, v21 offset:6528                           // 000000005738: D86C1980 46000015
	ds_read_b32 v71, v21 offset:6592                           // 000000005740: D86C19C0 47000015
	ds_read_b32 v74, v21 offset:8704                           // 000000005748: D86C2200 4A000015
	ds_read_b32 v75, v21 offset:8768                           // 000000005750: D86C2240 4B000015
	ds_read_b32 v78, v21 offset:10880                          // 000000005758: D86C2A80 4E000015
	ds_read_b32 v79, v21 offset:10944                          // 000000005760: D86C2AC0 4F000015
	ds_read_b32 v82, v21 offset:13056                          // 000000005768: D86C3300 52000015
	ds_read_b32 v83, v21 offset:13120                          // 000000005770: D86C3340 53000015
	ds_read_b32 v86, v21 offset:15232                          // 000000005778: D86C3B80 56000015
	ds_read_b32 v87, v21 offset:15296                          // 000000005780: D86C3BC0 57000015
	s_waitcnt lgkmcnt(0)                                       // 000000005788: BF8CC07F
	v_mov_b32_e32 v7, 0                                        // 00000000578C: 7E0E0280
	s_mov_b64 exec, s[36:37]                                   // 000000005790: BEFE0124
	v_mov_b32_e32 v6, v44                                      // 000000005794: 7E0C032C
	s_mov_b64 s[60:61], 0                                      // 000000005798: BEBC0180
	v_readlane_b32 s82, v3, 0                                  // 00000000579C: D2890052 00010103
	s_and_b32 s82, s82, 0xffffff                               // 0000000057A4: 8652FF52 00FFFFFF
	s_cmp_lt_u32 s82, s66                                      // 0000000057AC: BF0A4252
	s_cselect_b32 s20, s36, s60                                // 0000000057B0: 85143C24
	v_readlane_b32 s82, v3, 1                                  // 0000000057B4: D2890052 00010303
	s_and_b32 s82, s82, 0xffffff                               // 0000000057BC: 8652FF52 00FFFFFF
	s_cmp_lt_u32 s82, s66                                      // 0000000057C4: BF0A4252
	s_cselect_b32 s21, s36, s60                                // 0000000057C8: 85153C24
	s_mov_b64 exec, s[20:21]                                   // 0000000057CC: BEFE0114
	global_atomic_add_f32 v6, v58, s[8:9] offset:8             // 0000000057D0: DD348008 00083A06
	global_atomic_add_f32 v6, v62, s[8:9] offset:264           // 0000000057D8: DD348108 00083E06
	s_mov_b64 exec, s[36:37]                                   // 0000000057E0: BEFE0124
	v_mov_b32_e32 v6, v45                                      // 0000000057E4: 7E0C032D
	s_mov_b64 s[60:61], 0                                      // 0000000057E8: BEBC0180
	v_readlane_b32 s82, v3, 2                                  // 0000000057EC: D2890052 00010503
	s_and_b32 s82, s82, 0xffffff                               // 0000000057F4: 8652FF52 00FFFFFF
	s_cmp_lt_u32 s82, s66                                      // 0000000057FC: BF0A4252
	s_cselect_b32 s20, s36, s60                                // 000000005800: 85143C24
	v_readlane_b32 s82, v3, 3                                  // 000000005804: D2890052 00010703
	s_and_b32 s82, s82, 0xffffff                               // 00000000580C: 8652FF52 00FFFFFF
	s_cmp_lt_u32 s82, s66                                      // 000000005814: BF0A4252
	s_cselect_b32 s21, s36, s60                                // 000000005818: 85153C24
	s_mov_b64 exec, s[20:21]                                   // 00000000581C: BEFE0114
	global_atomic_add_f32 v6, v59, s[8:9] offset:8             // 000000005820: DD348008 00083B06
	global_atomic_add_f32 v6, v63, s[8:9] offset:264           // 000000005828: DD348108 00083F06
	s_mov_b64 exec, s[36:37]                                   // 000000005830: BEFE0124
	v_mov_b32_e32 v6, v46                                      // 000000005834: 7E0C032E
	s_mov_b64 s[60:61], 0                                      // 000000005838: BEBC0180
	v_readlane_b32 s82, v3, 4                                  // 00000000583C: D2890052 00010903
	s_and_b32 s82, s82, 0xffffff                               // 000000005844: 8652FF52 00FFFFFF
	s_cmp_lt_u32 s82, s66                                      // 00000000584C: BF0A4252
	s_cselect_b32 s20, s36, s60                                // 000000005850: 85143C24
	v_readlane_b32 s82, v3, 5                                  // 000000005854: D2890052 00010B03
	s_and_b32 s82, s82, 0xffffff                               // 00000000585C: 8652FF52 00FFFFFF
	s_cmp_lt_u32 s82, s66                                      // 000000005864: BF0A4252
	s_cselect_b32 s21, s36, s60                                // 000000005868: 85153C24
	s_mov_b64 exec, s[20:21]                                   // 00000000586C: BEFE0114
	global_atomic_add_f32 v6, v66, s[8:9] offset:8             // 000000005870: DD348008 00084206
	global_atomic_add_f32 v6, v70, s[8:9] offset:264           // 000000005878: DD348108 00084606
	s_mov_b64 exec, s[36:37]                                   // 000000005880: BEFE0124
	v_mov_b32_e32 v6, v47                                      // 000000005884: 7E0C032F
	s_mov_b64 s[60:61], 0                                      // 000000005888: BEBC0180
	v_readlane_b32 s82, v3, 6                                  // 00000000588C: D2890052 00010D03
	s_and_b32 s82, s82, 0xffffff                               // 000000005894: 8652FF52 00FFFFFF
	s_cmp_lt_u32 s82, s66                                      // 00000000589C: BF0A4252
	s_cselect_b32 s20, s36, s60                                // 0000000058A0: 85143C24
	v_readlane_b32 s82, v3, 7                                  // 0000000058A4: D2890052 00010F03
	s_and_b32 s82, s82, 0xffffff                               // 0000000058AC: 8652FF52 00FFFFFF
	s_cmp_lt_u32 s82, s66                                      // 0000000058B4: BF0A4252
	s_cselect_b32 s21, s36, s60                                // 0000000058B8: 85153C24
	s_mov_b64 exec, s[20:21]                                   // 0000000058BC: BEFE0114
	global_atomic_add_f32 v6, v67, s[8:9] offset:8             // 0000000058C0: DD348008 00084306
	global_atomic_add_f32 v6, v71, s[8:9] offset:264           // 0000000058C8: DD348108 00084706
	s_mov_b64 exec, s[36:37]                                   // 0000000058D0: BEFE0124
	v_mov_b32_e32 v6, v48                                      // 0000000058D4: 7E0C0330
	s_mov_b64 s[60:61], 0                                      // 0000000058D8: BEBC0180
	v_readlane_b32 s82, v3, 8                                  // 0000000058DC: D2890052 00011103
	s_and_b32 s82, s82, 0xffffff                               // 0000000058E4: 8652FF52 00FFFFFF
	s_cmp_lt_u32 s82, s66                                      // 0000000058EC: BF0A4252
	s_cselect_b32 s20, s36, s60                                // 0000000058F0: 85143C24
	v_readlane_b32 s82, v3, 9                                  // 0000000058F4: D2890052 00011303
	s_and_b32 s82, s82, 0xffffff                               // 0000000058FC: 8652FF52 00FFFFFF
	s_cmp_lt_u32 s82, s66                                      // 000000005904: BF0A4252
	s_cselect_b32 s21, s36, s60                                // 000000005908: 85153C24
	s_mov_b64 exec, s[20:21]                                   // 00000000590C: BEFE0114
	global_atomic_add_f32 v6, v74, s[8:9] offset:8             // 000000005910: DD348008 00084A06
	global_atomic_add_f32 v6, v78, s[8:9] offset:264           // 000000005918: DD348108 00084E06
	s_mov_b64 exec, s[36:37]                                   // 000000005920: BEFE0124
	v_mov_b32_e32 v6, v49                                      // 000000005924: 7E0C0331
	s_mov_b64 s[60:61], 0                                      // 000000005928: BEBC0180
	v_readlane_b32 s82, v3, 10                                 // 00000000592C: D2890052 00011503
	s_and_b32 s82, s82, 0xffffff                               // 000000005934: 8652FF52 00FFFFFF
	s_cmp_lt_u32 s82, s66                                      // 00000000593C: BF0A4252
	s_cselect_b32 s20, s36, s60                                // 000000005940: 85143C24
	v_readlane_b32 s82, v3, 11                                 // 000000005944: D2890052 00011703
	s_and_b32 s82, s82, 0xffffff                               // 00000000594C: 8652FF52 00FFFFFF
	s_cmp_lt_u32 s82, s66                                      // 000000005954: BF0A4252
	s_cselect_b32 s21, s36, s60                                // 000000005958: 85153C24
	s_mov_b64 exec, s[20:21]                                   // 00000000595C: BEFE0114
	global_atomic_add_f32 v6, v75, s[8:9] offset:8             // 000000005960: DD348008 00084B06
	global_atomic_add_f32 v6, v79, s[8:9] offset:264           // 000000005968: DD348108 00084F06
	s_mov_b64 exec, s[36:37]                                   // 000000005970: BEFE0124
	v_mov_b32_e32 v6, v50                                      // 000000005974: 7E0C0332
	s_mov_b64 s[60:61], 0                                      // 000000005978: BEBC0180
	v_readlane_b32 s82, v3, 12                                 // 00000000597C: D2890052 00011903
	s_and_b32 s82, s82, 0xffffff                               // 000000005984: 8652FF52 00FFFFFF
	s_cmp_lt_u32 s82, s66                                      // 00000000598C: BF0A4252
	s_cselect_b32 s20, s36, s60                                // 000000005990: 85143C24
	v_readlane_b32 s82, v3, 13                                 // 000000005994: D2890052 00011B03
	s_and_b32 s82, s82, 0xffffff                               // 00000000599C: 8652FF52 00FFFFFF
	s_cmp_lt_u32 s82, s66                                      // 0000000059A4: BF0A4252
	s_cselect_b32 s21, s36, s60                                // 0000000059A8: 85153C24
	s_mov_b64 exec, s[20:21]                                   // 0000000059AC: BEFE0114
	global_atomic_add_f32 v6, v82, s[8:9] offset:8             // 0000000059B0: DD348008 00085206
	global_atomic_add_f32 v6, v86, s[8:9] offset:264           // 0000000059B8: DD348108 00085606
	s_mov_b64 exec, s[36:37]                                   // 0000000059C0: BEFE0124
	v_mov_b32_e32 v6, v51                                      // 0000000059C4: 7E0C0333
	s_mov_b64 s[60:61], 0                                      // 0000000059C8: BEBC0180
	v_readlane_b32 s82, v3, 14                                 // 0000000059CC: D2890052 00011D03
	s_and_b32 s82, s82, 0xffffff                               // 0000000059D4: 8652FF52 00FFFFFF
	s_cmp_lt_u32 s82, s66                                      // 0000000059DC: BF0A4252
	s_cselect_b32 s20, s36, s60                                // 0000000059E0: 85143C24
	v_readlane_b32 s82, v3, 15                                 // 0000000059E4: D2890052 00011F03
	s_and_b32 s82, s82, 0xffffff                               // 0000000059EC: 8652FF52 00FFFFFF
	s_cmp_lt_u32 s82, s66                                      // 0000000059F4: BF0A4252
	s_cselect_b32 s21, s36, s60                                // 0000000059F8: 85153C24
	s_mov_b64 exec, s[20:21]                                   // 0000000059FC: BEFE0114
	global_atomic_add_f32 v6, v83, s[8:9] offset:8             // 000000005A00: DD348008 00085306
	global_atomic_add_f32 v6, v87, s[8:9] offset:264           // 000000005A08: DD348108 00085706
	s_mov_b64 exec, s[36:37]                                   // 000000005A10: BEFE0124
	ds_write_b64 v20, v[88:89]                                 // 000000005A14: D89A0000 00005814
	ds_write_b64 v20, v[92:93] offset:4352                     // 000000005A1C: D89A1100 00005C14
	ds_write_b64 v20, v[96:97] offset:8704                     // 000000005A24: D89A2200 00006014
	ds_write_b64 v20, v[100:101] offset:13056                  // 000000005A2C: D89A3300 00006414
	ds_write_b64 v20, v[104:105] offset:2176                   // 000000005A34: D89A0880 00006814
	ds_write_b64 v20, v[108:109] offset:6528                   // 000000005A3C: D89A1980 00006C14
	ds_write_b64 v20, v[112:113] offset:10880                  // 000000005A44: D89A2A80 00007014
	ds_write_b64 v20, v[116:117] offset:15232                  // 000000005A4C: D89A3B80 00007414
	s_waitcnt lgkmcnt(0)                                       // 000000005A54: BF8CC07F
	s_barrier                                                  // 000000005A58: BF8A0000
	ds_read_b32 v88, v21                                       // 000000005A5C: D86C0000 58000015
	ds_read_b32 v89, v21 offset:64                             // 000000005A64: D86C0040 59000015
	ds_read_b32 v92, v21 offset:2176                           // 000000005A6C: D86C0880 5C000015
	ds_read_b32 v93, v21 offset:2240                           // 000000005A74: D86C08C0 5D000015
	ds_read_b32 v96, v21 offset:4352                           // 000000005A7C: D86C1100 60000015
	ds_read_b32 v97, v21 offset:4416                           // 000000005A84: D86C1140 61000015
	ds_read_b32 v100, v21 offset:6528                          // 000000005A8C: D86C1980 64000015
	ds_read_b32 v101, v21 offset:6592                          // 000000005A94: D86C19C0 65000015
	ds_read_b32 v104, v21 offset:8704                          // 000000005A9C: D86C2200 68000015
	ds_read_b32 v105, v21 offset:8768                          // 000000005AA4: D86C2240 69000015
	ds_read_b32 v108, v21 offset:10880                         // 000000005AAC: D86C2A80 6C000015
	ds_read_b32 v109, v21 offset:10944                         // 000000005AB4: D86C2AC0 6D000015
	ds_read_b32 v112, v21 offset:13056                         // 000000005ABC: D86C3300 70000015
	ds_read_b32 v113, v21 offset:13120                         // 000000005AC4: D86C3340 71000015
	ds_read_b32 v116, v21 offset:15232                         // 000000005ACC: D86C3B80 74000015
	ds_read_b32 v117, v21 offset:15296                         // 000000005AD4: D86C3BC0 75000015
	s_mul_i32 s60, s65, 4                                      // 000000005ADC: 923C8441
	s_add_u32 s8, s60, s8                                      // 000000005AE0: 8008083C
	s_addc_u32 s9, 0, s9                                       // 000000005AE4: 82090980
	s_waitcnt lgkmcnt(0)                                       // 000000005AE8: BF8CC07F
	v_mov_b32_e32 v7, 0                                        // 000000005AEC: 7E0E0280
	s_mov_b64 exec, s[36:37]                                   // 000000005AF0: BEFE0124
	v_mov_b32_e32 v6, v44                                      // 000000005AF4: 7E0C032C
	s_mov_b64 s[60:61], 0                                      // 000000005AF8: BEBC0180
	v_readlane_b32 s82, v3, 0                                  // 000000005AFC: D2890052 00010103
	s_and_b32 s82, s82, 0xffffff                               // 000000005B04: 8652FF52 00FFFFFF
	s_cmp_lt_u32 s82, s66                                      // 000000005B0C: BF0A4252
	s_cselect_b32 s20, s36, s60                                // 000000005B10: 85143C24
	v_readlane_b32 s82, v3, 1                                  // 000000005B14: D2890052 00010303
	s_and_b32 s82, s82, 0xffffff                               // 000000005B1C: 8652FF52 00FFFFFF
	s_cmp_lt_u32 s82, s66                                      // 000000005B24: BF0A4252
	s_cselect_b32 s21, s36, s60                                // 000000005B28: 85153C24
	s_mov_b64 exec, s[20:21]                                   // 000000005B2C: BEFE0114
	global_atomic_add_f32 v6, v88, s[8:9]                      // 000000005B30: DD348000 00085806
	global_atomic_add_f32 v6, v92, s[8:9] offset:256           // 000000005B38: DD348100 00085C06
	s_mov_b64 exec, s[36:37]                                   // 000000005B40: BEFE0124
	v_mov_b32_e32 v6, v45                                      // 000000005B44: 7E0C032D
	s_mov_b64 s[60:61], 0                                      // 000000005B48: BEBC0180
	v_readlane_b32 s82, v3, 2                                  // 000000005B4C: D2890052 00010503
	s_and_b32 s82, s82, 0xffffff                               // 000000005B54: 8652FF52 00FFFFFF
	s_cmp_lt_u32 s82, s66                                      // 000000005B5C: BF0A4252
	s_cselect_b32 s20, s36, s60                                // 000000005B60: 85143C24
	v_readlane_b32 s82, v3, 3                                  // 000000005B64: D2890052 00010703
	s_and_b32 s82, s82, 0xffffff                               // 000000005B6C: 8652FF52 00FFFFFF
	s_cmp_lt_u32 s82, s66                                      // 000000005B74: BF0A4252
	s_cselect_b32 s21, s36, s60                                // 000000005B78: 85153C24
	s_mov_b64 exec, s[20:21]                                   // 000000005B7C: BEFE0114
	global_atomic_add_f32 v6, v89, s[8:9]                      // 000000005B80: DD348000 00085906
	global_atomic_add_f32 v6, v93, s[8:9] offset:256           // 000000005B88: DD348100 00085D06
	s_mov_b64 exec, s[36:37]                                   // 000000005B90: BEFE0124
	v_mov_b32_e32 v6, v46                                      // 000000005B94: 7E0C032E
	s_mov_b64 s[60:61], 0                                      // 000000005B98: BEBC0180
	v_readlane_b32 s82, v3, 4                                  // 000000005B9C: D2890052 00010903
	s_and_b32 s82, s82, 0xffffff                               // 000000005BA4: 8652FF52 00FFFFFF
	s_cmp_lt_u32 s82, s66                                      // 000000005BAC: BF0A4252
	s_cselect_b32 s20, s36, s60                                // 000000005BB0: 85143C24
	v_readlane_b32 s82, v3, 5                                  // 000000005BB4: D2890052 00010B03
	s_and_b32 s82, s82, 0xffffff                               // 000000005BBC: 8652FF52 00FFFFFF
	s_cmp_lt_u32 s82, s66                                      // 000000005BC4: BF0A4252
	s_cselect_b32 s21, s36, s60                                // 000000005BC8: 85153C24
	s_mov_b64 exec, s[20:21]                                   // 000000005BCC: BEFE0114
	global_atomic_add_f32 v6, v96, s[8:9]                      // 000000005BD0: DD348000 00086006
	global_atomic_add_f32 v6, v100, s[8:9] offset:256          // 000000005BD8: DD348100 00086406
	s_mov_b64 exec, s[36:37]                                   // 000000005BE0: BEFE0124
	v_mov_b32_e32 v6, v47                                      // 000000005BE4: 7E0C032F
	s_mov_b64 s[60:61], 0                                      // 000000005BE8: BEBC0180
	v_readlane_b32 s82, v3, 6                                  // 000000005BEC: D2890052 00010D03
	s_and_b32 s82, s82, 0xffffff                               // 000000005BF4: 8652FF52 00FFFFFF
	s_cmp_lt_u32 s82, s66                                      // 000000005BFC: BF0A4252
	s_cselect_b32 s20, s36, s60                                // 000000005C00: 85143C24
	v_readlane_b32 s82, v3, 7                                  // 000000005C04: D2890052 00010F03
	s_and_b32 s82, s82, 0xffffff                               // 000000005C0C: 8652FF52 00FFFFFF
	s_cmp_lt_u32 s82, s66                                      // 000000005C14: BF0A4252
	s_cselect_b32 s21, s36, s60                                // 000000005C18: 85153C24
	s_mov_b64 exec, s[20:21]                                   // 000000005C1C: BEFE0114
	global_atomic_add_f32 v6, v97, s[8:9]                      // 000000005C20: DD348000 00086106
	global_atomic_add_f32 v6, v101, s[8:9] offset:256          // 000000005C28: DD348100 00086506
	s_mov_b64 exec, s[36:37]                                   // 000000005C30: BEFE0124
	v_mov_b32_e32 v6, v48                                      // 000000005C34: 7E0C0330
	s_mov_b64 s[60:61], 0                                      // 000000005C38: BEBC0180
	v_readlane_b32 s82, v3, 8                                  // 000000005C3C: D2890052 00011103
	s_and_b32 s82, s82, 0xffffff                               // 000000005C44: 8652FF52 00FFFFFF
	s_cmp_lt_u32 s82, s66                                      // 000000005C4C: BF0A4252
	s_cselect_b32 s20, s36, s60                                // 000000005C50: 85143C24
	v_readlane_b32 s82, v3, 9                                  // 000000005C54: D2890052 00011303
	s_and_b32 s82, s82, 0xffffff                               // 000000005C5C: 8652FF52 00FFFFFF
	s_cmp_lt_u32 s82, s66                                      // 000000005C64: BF0A4252
	s_cselect_b32 s21, s36, s60                                // 000000005C68: 85153C24
	s_mov_b64 exec, s[20:21]                                   // 000000005C6C: BEFE0114
	global_atomic_add_f32 v6, v104, s[8:9]                     // 000000005C70: DD348000 00086806
	global_atomic_add_f32 v6, v108, s[8:9] offset:256          // 000000005C78: DD348100 00086C06
	s_mov_b64 exec, s[36:37]                                   // 000000005C80: BEFE0124
	v_mov_b32_e32 v6, v49                                      // 000000005C84: 7E0C0331
	s_mov_b64 s[60:61], 0                                      // 000000005C88: BEBC0180
	v_readlane_b32 s82, v3, 10                                 // 000000005C8C: D2890052 00011503
	s_and_b32 s82, s82, 0xffffff                               // 000000005C94: 8652FF52 00FFFFFF
	s_cmp_lt_u32 s82, s66                                      // 000000005C9C: BF0A4252
	s_cselect_b32 s20, s36, s60                                // 000000005CA0: 85143C24
	v_readlane_b32 s82, v3, 11                                 // 000000005CA4: D2890052 00011703
	s_and_b32 s82, s82, 0xffffff                               // 000000005CAC: 8652FF52 00FFFFFF
	s_cmp_lt_u32 s82, s66                                      // 000000005CB4: BF0A4252
	s_cselect_b32 s21, s36, s60                                // 000000005CB8: 85153C24
	s_mov_b64 exec, s[20:21]                                   // 000000005CBC: BEFE0114
	global_atomic_add_f32 v6, v105, s[8:9]                     // 000000005CC0: DD348000 00086906
	global_atomic_add_f32 v6, v109, s[8:9] offset:256          // 000000005CC8: DD348100 00086D06
	s_mov_b64 exec, s[36:37]                                   // 000000005CD0: BEFE0124
	v_mov_b32_e32 v6, v50                                      // 000000005CD4: 7E0C0332
	s_mov_b64 s[60:61], 0                                      // 000000005CD8: BEBC0180
	v_readlane_b32 s82, v3, 12                                 // 000000005CDC: D2890052 00011903
	s_and_b32 s82, s82, 0xffffff                               // 000000005CE4: 8652FF52 00FFFFFF
	s_cmp_lt_u32 s82, s66                                      // 000000005CEC: BF0A4252
	s_cselect_b32 s20, s36, s60                                // 000000005CF0: 85143C24
	v_readlane_b32 s82, v3, 13                                 // 000000005CF4: D2890052 00011B03
	s_and_b32 s82, s82, 0xffffff                               // 000000005CFC: 8652FF52 00FFFFFF
	s_cmp_lt_u32 s82, s66                                      // 000000005D04: BF0A4252
	s_cselect_b32 s21, s36, s60                                // 000000005D08: 85153C24
	s_mov_b64 exec, s[20:21]                                   // 000000005D0C: BEFE0114
	global_atomic_add_f32 v6, v112, s[8:9]                     // 000000005D10: DD348000 00087006
	global_atomic_add_f32 v6, v116, s[8:9] offset:256          // 000000005D18: DD348100 00087406
	s_mov_b64 exec, s[36:37]                                   // 000000005D20: BEFE0124
	v_mov_b32_e32 v6, v51                                      // 000000005D24: 7E0C0333
	s_mov_b64 s[60:61], 0                                      // 000000005D28: BEBC0180
	v_readlane_b32 s82, v3, 14                                 // 000000005D2C: D2890052 00011D03
	s_and_b32 s82, s82, 0xffffff                               // 000000005D34: 8652FF52 00FFFFFF
	s_cmp_lt_u32 s82, s66                                      // 000000005D3C: BF0A4252
	s_cselect_b32 s20, s36, s60                                // 000000005D40: 85143C24
	v_readlane_b32 s82, v3, 15                                 // 000000005D44: D2890052 00011F03
	s_and_b32 s82, s82, 0xffffff                               // 000000005D4C: 8652FF52 00FFFFFF
	s_cmp_lt_u32 s82, s66                                      // 000000005D54: BF0A4252
	s_cselect_b32 s21, s36, s60                                // 000000005D58: 85153C24
	s_mov_b64 exec, s[20:21]                                   // 000000005D5C: BEFE0114
	global_atomic_add_f32 v6, v113, s[8:9]                     // 000000005D60: DD348000 00087106
	global_atomic_add_f32 v6, v117, s[8:9] offset:256          // 000000005D68: DD348100 00087506
	s_mov_b64 exec, s[36:37]                                   // 000000005D70: BEFE0124
	ds_write_b64 v20, v[90:91]                                 // 000000005D74: D89A0000 00005A14
	ds_write_b64 v20, v[94:95] offset:4352                     // 000000005D7C: D89A1100 00005E14
	ds_write_b64 v20, v[98:99] offset:8704                     // 000000005D84: D89A2200 00006214
	ds_write_b64 v20, v[102:103] offset:13056                  // 000000005D8C: D89A3300 00006614
	ds_write_b64 v20, v[106:107] offset:2176                   // 000000005D94: D89A0880 00006A14
	ds_write_b64 v20, v[110:111] offset:6528                   // 000000005D9C: D89A1980 00006E14
	ds_write_b64 v20, v[114:115] offset:10880                  // 000000005DA4: D89A2A80 00007214
	ds_write_b64 v20, v[118:119] offset:15232                  // 000000005DAC: D89A3B80 00007614
	s_waitcnt lgkmcnt(0)                                       // 000000005DB4: BF8CC07F
	s_barrier                                                  // 000000005DB8: BF8A0000
	ds_read_b32 v90, v21                                       // 000000005DBC: D86C0000 5A000015
	ds_read_b32 v91, v21 offset:64                             // 000000005DC4: D86C0040 5B000015
	ds_read_b32 v94, v21 offset:2176                           // 000000005DCC: D86C0880 5E000015
	ds_read_b32 v95, v21 offset:2240                           // 000000005DD4: D86C08C0 5F000015
	ds_read_b32 v98, v21 offset:4352                           // 000000005DDC: D86C1100 62000015
	ds_read_b32 v99, v21 offset:4416                           // 000000005DE4: D86C1140 63000015
	ds_read_b32 v102, v21 offset:6528                          // 000000005DEC: D86C1980 66000015
	ds_read_b32 v103, v21 offset:6592                          // 000000005DF4: D86C19C0 67000015
	ds_read_b32 v106, v21 offset:8704                          // 000000005DFC: D86C2200 6A000015
	ds_read_b32 v107, v21 offset:8768                          // 000000005E04: D86C2240 6B000015
	ds_read_b32 v110, v21 offset:10880                         // 000000005E0C: D86C2A80 6E000015
	ds_read_b32 v111, v21 offset:10944                         // 000000005E14: D86C2AC0 6F000015
	ds_read_b32 v114, v21 offset:13056                         // 000000005E1C: D86C3300 72000015
	ds_read_b32 v115, v21 offset:13120                         // 000000005E24: D86C3340 73000015
	ds_read_b32 v118, v21 offset:15232                         // 000000005E2C: D86C3B80 76000015
	ds_read_b32 v119, v21 offset:15296                         // 000000005E34: D86C3BC0 77000015
	s_waitcnt lgkmcnt(0)                                       // 000000005E3C: BF8CC07F
	v_mov_b32_e32 v7, 0                                        // 000000005E40: 7E0E0280
	s_mov_b64 exec, s[36:37]                                   // 000000005E44: BEFE0124
	v_mov_b32_e32 v6, v44                                      // 000000005E48: 7E0C032C
	s_mov_b64 s[60:61], 0                                      // 000000005E4C: BEBC0180
	v_readlane_b32 s82, v3, 0                                  // 000000005E50: D2890052 00010103
	s_and_b32 s82, s82, 0xffffff                               // 000000005E58: 8652FF52 00FFFFFF
	s_cmp_lt_u32 s82, s66                                      // 000000005E60: BF0A4252
	s_cselect_b32 s20, s36, s60                                // 000000005E64: 85143C24
	v_readlane_b32 s82, v3, 1                                  // 000000005E68: D2890052 00010303
	s_and_b32 s82, s82, 0xffffff                               // 000000005E70: 8652FF52 00FFFFFF
	s_cmp_lt_u32 s82, s66                                      // 000000005E78: BF0A4252
	s_cselect_b32 s21, s36, s60                                // 000000005E7C: 85153C24
	s_mov_b64 exec, s[20:21]                                   // 000000005E80: BEFE0114
	global_atomic_add_f32 v6, v90, s[8:9] offset:8             // 000000005E84: DD348008 00085A06
	global_atomic_add_f32 v6, v94, s[8:9] offset:264           // 000000005E8C: DD348108 00085E06
	s_mov_b64 exec, s[36:37]                                   // 000000005E94: BEFE0124
	v_mov_b32_e32 v6, v45                                      // 000000005E98: 7E0C032D
	s_mov_b64 s[60:61], 0                                      // 000000005E9C: BEBC0180
	v_readlane_b32 s82, v3, 2                                  // 000000005EA0: D2890052 00010503
	s_and_b32 s82, s82, 0xffffff                               // 000000005EA8: 8652FF52 00FFFFFF
	s_cmp_lt_u32 s82, s66                                      // 000000005EB0: BF0A4252
	s_cselect_b32 s20, s36, s60                                // 000000005EB4: 85143C24
	v_readlane_b32 s82, v3, 3                                  // 000000005EB8: D2890052 00010703
	s_and_b32 s82, s82, 0xffffff                               // 000000005EC0: 8652FF52 00FFFFFF
	s_cmp_lt_u32 s82, s66                                      // 000000005EC8: BF0A4252
	s_cselect_b32 s21, s36, s60                                // 000000005ECC: 85153C24
	s_mov_b64 exec, s[20:21]                                   // 000000005ED0: BEFE0114
	global_atomic_add_f32 v6, v91, s[8:9] offset:8             // 000000005ED4: DD348008 00085B06
	global_atomic_add_f32 v6, v95, s[8:9] offset:264           // 000000005EDC: DD348108 00085F06
	s_mov_b64 exec, s[36:37]                                   // 000000005EE4: BEFE0124
	v_mov_b32_e32 v6, v46                                      // 000000005EE8: 7E0C032E
	s_mov_b64 s[60:61], 0                                      // 000000005EEC: BEBC0180
	v_readlane_b32 s82, v3, 4                                  // 000000005EF0: D2890052 00010903
	s_and_b32 s82, s82, 0xffffff                               // 000000005EF8: 8652FF52 00FFFFFF
	s_cmp_lt_u32 s82, s66                                      // 000000005F00: BF0A4252
	s_cselect_b32 s20, s36, s60                                // 000000005F04: 85143C24
	v_readlane_b32 s82, v3, 5                                  // 000000005F08: D2890052 00010B03
	s_and_b32 s82, s82, 0xffffff                               // 000000005F10: 8652FF52 00FFFFFF
	s_cmp_lt_u32 s82, s66                                      // 000000005F18: BF0A4252
	s_cselect_b32 s21, s36, s60                                // 000000005F1C: 85153C24
	s_mov_b64 exec, s[20:21]                                   // 000000005F20: BEFE0114
	global_atomic_add_f32 v6, v98, s[8:9] offset:8             // 000000005F24: DD348008 00086206
	global_atomic_add_f32 v6, v102, s[8:9] offset:264          // 000000005F2C: DD348108 00086606
	s_mov_b64 exec, s[36:37]                                   // 000000005F34: BEFE0124
	v_mov_b32_e32 v6, v47                                      // 000000005F38: 7E0C032F
	s_mov_b64 s[60:61], 0                                      // 000000005F3C: BEBC0180
	v_readlane_b32 s82, v3, 6                                  // 000000005F40: D2890052 00010D03
	s_and_b32 s82, s82, 0xffffff                               // 000000005F48: 8652FF52 00FFFFFF
	s_cmp_lt_u32 s82, s66                                      // 000000005F50: BF0A4252
	s_cselect_b32 s20, s36, s60                                // 000000005F54: 85143C24
	v_readlane_b32 s82, v3, 7                                  // 000000005F58: D2890052 00010F03
	s_and_b32 s82, s82, 0xffffff                               // 000000005F60: 8652FF52 00FFFFFF
	s_cmp_lt_u32 s82, s66                                      // 000000005F68: BF0A4252
	s_cselect_b32 s21, s36, s60                                // 000000005F6C: 85153C24
	s_mov_b64 exec, s[20:21]                                   // 000000005F70: BEFE0114
	global_atomic_add_f32 v6, v99, s[8:9] offset:8             // 000000005F74: DD348008 00086306
	global_atomic_add_f32 v6, v103, s[8:9] offset:264          // 000000005F7C: DD348108 00086706
	s_mov_b64 exec, s[36:37]                                   // 000000005F84: BEFE0124
	v_mov_b32_e32 v6, v48                                      // 000000005F88: 7E0C0330
	s_mov_b64 s[60:61], 0                                      // 000000005F8C: BEBC0180
	v_readlane_b32 s82, v3, 8                                  // 000000005F90: D2890052 00011103
	s_and_b32 s82, s82, 0xffffff                               // 000000005F98: 8652FF52 00FFFFFF
	s_cmp_lt_u32 s82, s66                                      // 000000005FA0: BF0A4252
	s_cselect_b32 s20, s36, s60                                // 000000005FA4: 85143C24
	v_readlane_b32 s82, v3, 9                                  // 000000005FA8: D2890052 00011303
	s_and_b32 s82, s82, 0xffffff                               // 000000005FB0: 8652FF52 00FFFFFF
	s_cmp_lt_u32 s82, s66                                      // 000000005FB8: BF0A4252
	s_cselect_b32 s21, s36, s60                                // 000000005FBC: 85153C24
	s_mov_b64 exec, s[20:21]                                   // 000000005FC0: BEFE0114
	global_atomic_add_f32 v6, v106, s[8:9] offset:8            // 000000005FC4: DD348008 00086A06
	global_atomic_add_f32 v6, v110, s[8:9] offset:264          // 000000005FCC: DD348108 00086E06
	s_mov_b64 exec, s[36:37]                                   // 000000005FD4: BEFE0124
	v_mov_b32_e32 v6, v49                                      // 000000005FD8: 7E0C0331
	s_mov_b64 s[60:61], 0                                      // 000000005FDC: BEBC0180
	v_readlane_b32 s82, v3, 10                                 // 000000005FE0: D2890052 00011503
	s_and_b32 s82, s82, 0xffffff                               // 000000005FE8: 8652FF52 00FFFFFF
	s_cmp_lt_u32 s82, s66                                      // 000000005FF0: BF0A4252
	s_cselect_b32 s20, s36, s60                                // 000000005FF4: 85143C24
	v_readlane_b32 s82, v3, 11                                 // 000000005FF8: D2890052 00011703
	s_and_b32 s82, s82, 0xffffff                               // 000000006000: 8652FF52 00FFFFFF
	s_cmp_lt_u32 s82, s66                                      // 000000006008: BF0A4252
	s_cselect_b32 s21, s36, s60                                // 00000000600C: 85153C24
	s_mov_b64 exec, s[20:21]                                   // 000000006010: BEFE0114
	global_atomic_add_f32 v6, v107, s[8:9] offset:8            // 000000006014: DD348008 00086B06
	global_atomic_add_f32 v6, v111, s[8:9] offset:264          // 00000000601C: DD348108 00086F06
	s_mov_b64 exec, s[36:37]                                   // 000000006024: BEFE0124
	v_mov_b32_e32 v6, v50                                      // 000000006028: 7E0C0332
	s_mov_b64 s[60:61], 0                                      // 00000000602C: BEBC0180
	v_readlane_b32 s82, v3, 12                                 // 000000006030: D2890052 00011903
	s_and_b32 s82, s82, 0xffffff                               // 000000006038: 8652FF52 00FFFFFF
	s_cmp_lt_u32 s82, s66                                      // 000000006040: BF0A4252
	s_cselect_b32 s20, s36, s60                                // 000000006044: 85143C24
	v_readlane_b32 s82, v3, 13                                 // 000000006048: D2890052 00011B03
	s_and_b32 s82, s82, 0xffffff                               // 000000006050: 8652FF52 00FFFFFF
	s_cmp_lt_u32 s82, s66                                      // 000000006058: BF0A4252
	s_cselect_b32 s21, s36, s60                                // 00000000605C: 85153C24
	s_mov_b64 exec, s[20:21]                                   // 000000006060: BEFE0114
	global_atomic_add_f32 v6, v114, s[8:9] offset:8            // 000000006064: DD348008 00087206
	global_atomic_add_f32 v6, v118, s[8:9] offset:264          // 00000000606C: DD348108 00087606
	s_mov_b64 exec, s[36:37]                                   // 000000006074: BEFE0124
	v_mov_b32_e32 v6, v51                                      // 000000006078: 7E0C0333
	s_mov_b64 s[60:61], 0                                      // 00000000607C: BEBC0180
	v_readlane_b32 s82, v3, 14                                 // 000000006080: D2890052 00011D03
	s_and_b32 s82, s82, 0xffffff                               // 000000006088: 8652FF52 00FFFFFF
	s_cmp_lt_u32 s82, s66                                      // 000000006090: BF0A4252
	s_cselect_b32 s20, s36, s60                                // 000000006094: 85143C24
	v_readlane_b32 s82, v3, 15                                 // 000000006098: D2890052 00011F03
	s_and_b32 s82, s82, 0xffffff                               // 0000000060A0: 8652FF52 00FFFFFF
	s_cmp_lt_u32 s82, s66                                      // 0000000060A8: BF0A4252
	s_cselect_b32 s21, s36, s60                                // 0000000060AC: 85153C24
	s_mov_b64 exec, s[20:21]                                   // 0000000060B0: BEFE0114
	global_atomic_add_f32 v6, v115, s[8:9] offset:8            // 0000000060B4: DD348008 00087306
	global_atomic_add_f32 v6, v119, s[8:9] offset:264          // 0000000060BC: DD348108 00087706
	s_mov_b64 exec, s[36:37]                                   // 0000000060C4: BEFE0124
	s_branch label_190C                                        // 0000000060C8: BF820B56

00000000000060cc <label_0DB6>:
	s_waitcnt vmcnt(2) lgkmcnt(0)                              // 0000000060CC: BF8C0072
	s_barrier                                                  // 0000000060D0: BF8A0000
	v_mfma_f32_16x16x32_fp8_fp8 v[56:59], a[64:65], a[0:1], v[56:59]// 0000000060D4: D3F30038 1CE20140
	buffer_load_dwordx4 a[80:83], v52, s[84:87], 0 offen       // 0000000060DC: E05C1000 80955034
	v_mfma_f32_16x16x32_fp8_fp8 v[56:59], a[66:67], a[2:3], v[56:59]// 0000000060E4: D3F30038 1CE20542
	v_mfma_f32_16x16x32_fp8_fp8 v[56:59], a[68:69], a[4:5], v[56:59]// 0000000060EC: D3F30038 1CE20944
	v_mfma_f32_16x16x32_fp8_fp8 v[56:59], a[70:71], a[6:7], v[56:59]// 0000000060F4: D3F30038 1CE20D46
	v_mfma_f32_16x16x32_fp8_fp8 v[60:63], a[64:65], a[8:9], v[60:63]// 0000000060FC: D3F3003C 1CF21140
	buffer_load_dwordx4 a[84:87], v52, s[84:87], 0 offen offset:1024// 000000006104: E05C1400 80955434
	v_mfma_f32_16x16x32_fp8_fp8 v[60:63], a[66:67], a[10:11], v[60:63]// 00000000610C: D3F3003C 1CF21542
	v_mfma_f32_16x16x32_fp8_fp8 v[60:63], a[68:69], a[12:13], v[60:63]// 000000006114: D3F3003C 1CF21944
	v_mfma_f32_16x16x32_fp8_fp8 v[60:63], a[70:71], a[14:15], v[60:63]// 00000000611C: D3F3003C 1CF21D46
	v_mfma_f32_16x16x32_fp8_fp8 v[64:67], a[64:65], a[16:17], v[64:67]// 000000006124: D3F30040 1D022140
	buffer_load_dwordx4 a[88:91], v53, s[84:87], 0 offen       // 00000000612C: E05C1000 80955835
	v_mfma_f32_16x16x32_fp8_fp8 v[64:67], a[66:67], a[18:19], v[64:67]// 000000006134: D3F30040 1D022542
	v_mfma_f32_16x16x32_fp8_fp8 v[64:67], a[68:69], a[20:21], v[64:67]// 00000000613C: D3F30040 1D022944
	v_mfma_f32_16x16x32_fp8_fp8 v[64:67], a[70:71], a[22:23], v[64:67]// 000000006144: D3F30040 1D022D46
	v_mfma_f32_16x16x32_fp8_fp8 v[68:71], a[64:65], a[24:25], v[68:71]// 00000000614C: D3F30044 1D123140
	buffer_load_dwordx4 a[92:95], v53, s[84:87], 0 offen offset:1024// 000000006154: E05C1400 80955C35
	buffer_load_dword v44, s[20:23], 0 offen lds               // 00000000615C: E0511000 8005002C
	s_add_u32 m0, 0x100, s48                                   // 000000006164: 807C30FF 00000100
	v_mfma_f32_16x16x32_fp8_fp8 v[68:71], a[66:67], a[26:27], v[68:71]// 00000000616C: D3F30044 1D123542
	v_mfma_f32_16x16x32_fp8_fp8 v[68:71], a[68:69], a[28:29], v[68:71]// 000000006174: D3F30044 1D123944
	buffer_load_dword v45, s[20:23], 0 offen lds               // 00000000617C: E0511000 8005002D
	s_add_u32 m0, 0x200, s48                                   // 000000006184: 807C30FF 00000200
	v_mfma_f32_16x16x32_fp8_fp8 v[68:71], a[70:71], a[30:31], v[68:71]// 00000000618C: D3F30044 1D123D46
	s_waitcnt vmcnt(6)                                         // 000000006194: BF8C0F76
	v_mfma_f32_16x16x32_fp8_fp8 v[72:75], a[72:73], a[0:1], v[72:75]// 000000006198: D3F30048 1D220148
	buffer_load_dword v46, s[20:23], 0 offen lds               // 0000000061A0: E0511000 8005002E
	s_add_u32 m0, 0x300, s48                                   // 0000000061A8: 807C30FF 00000300
	v_mfma_f32_16x16x32_fp8_fp8 v[72:75], a[74:75], a[2:3], v[72:75]// 0000000061B0: D3F30048 1D22054A
	v_mfma_f32_16x16x32_fp8_fp8 v[72:75], a[76:77], a[4:5], v[72:75]// 0000000061B8: D3F30048 1D22094C
	buffer_load_dword v47, s[20:23], 0 offen lds               // 0000000061C0: E0511000 8005002F
	s_add_u32 m0, 0x400, s48                                   // 0000000061C8: 807C30FF 00000400
	v_mfma_f32_16x16x32_fp8_fp8 v[72:75], a[78:79], a[6:7], v[72:75]// 0000000061D0: D3F30048 1D220D4E
	v_mfma_f32_16x16x32_fp8_fp8 v[76:79], a[72:73], a[8:9], v[76:79]// 0000000061D8: D3F3004C 1D321148
	buffer_load_dword v48, s[20:23], 0 offen lds               // 0000000061E0: E0511000 80050030
	s_add_u32 m0, 0x500, s48                                   // 0000000061E8: 807C30FF 00000500
	v_mfma_f32_16x16x32_fp8_fp8 v[76:79], a[74:75], a[10:11], v[76:79]// 0000000061F0: D3F3004C 1D32154A
	v_mfma_f32_16x16x32_fp8_fp8 v[76:79], a[76:77], a[12:13], v[76:79]// 0000000061F8: D3F3004C 1D32194C
	buffer_load_dword v49, s[20:23], 0 offen lds               // 000000006200: E0511000 80050031
	s_add_u32 m0, 0x600, s48                                   // 000000006208: 807C30FF 00000600
	v_mfma_f32_16x16x32_fp8_fp8 v[76:79], a[78:79], a[14:15], v[76:79]// 000000006210: D3F3004C 1D321D4E
	v_mfma_f32_16x16x32_fp8_fp8 v[80:83], a[72:73], a[16:17], v[80:83]// 000000006218: D3F30050 1D422148
	buffer_load_dword v50, s[20:23], 0 offen lds               // 000000006220: E0511000 80050032
	s_add_u32 m0, 0x700, s48                                   // 000000006228: 807C30FF 00000700
	v_mfma_f32_16x16x32_fp8_fp8 v[80:83], a[74:75], a[18:19], v[80:83]// 000000006230: D3F30050 1D42254A
	v_mfma_f32_16x16x32_fp8_fp8 v[80:83], a[76:77], a[20:21], v[80:83]// 000000006238: D3F30050 1D42294C
	buffer_load_dword v51, s[20:23], 0 offen lds               // 000000006240: E0511000 80050033
	s_add_u32 m0, 0, s49                                       // 000000006248: 807C3180
	v_mfma_f32_16x16x32_fp8_fp8 v[80:83], a[78:79], a[22:23], v[80:83]// 00000000624C: D3F30050 1D422D4E
	v_mfma_f32_16x16x32_fp8_fp8 v[84:87], a[72:73], a[24:25], v[84:87]// 000000006254: D3F30054 1D523148
	v_mfma_f32_16x16x32_fp8_fp8 v[84:87], a[74:75], a[26:27], v[84:87]// 00000000625C: D3F30054 1D52354A
	s_add_u32 s60, 0x80, s80                                   // 000000006264: 803C50FF 00000080
	s_cmp_lt_u32 s60, s81                                      // 00000000626C: BF0A513C
	s_cselect_b32 s83, s83, 0                                  // 000000006270: 85538053
	v_mfma_f32_16x16x32_fp8_fp8 v[84:87], a[76:77], a[28:29], v[84:87]// 000000006274: D3F30054 1D52394C
	v_mfma_f32_16x16x32_fp8_fp8 v[84:87], a[78:79], a[30:31], v[84:87]// 00000000627C: D3F30054 1D523D4E
	s_waitcnt vmcnt(8)                                         // 000000006284: BF8C0F78
	v_mfma_f32_16x16x32_fp8_fp8 v[88:91], a[80:81], a[0:1], v[88:91]// 000000006288: D3F30058 1D620150
	buffer_load_dwordx4 a[64:67], v52, s[24:27], 0 offen       // 000000006290: E05C1000 80864034
	v_mfma_f32_16x16x32_fp8_fp8 v[88:91], a[82:83], a[2:3], v[88:91]// 000000006298: D3F30058 1D620552
	v_mfma_f32_16x16x32_fp8_fp8 v[88:91], a[84:85], a[4:5], v[88:91]// 0000000062A0: D3F30058 1D620954
	ds_read_b128 a[32:35], v2 offset:8320                      // 0000000062A8: DBFE2080 20000002
	ds_read_b128 a[36:39], v2 offset:8384                      // 0000000062B0: DBFE20C0 24000002
	v_mfma_f32_16x16x32_fp8_fp8 v[88:91], a[86:87], a[6:7], v[88:91]// 0000000062B8: D3F30058 1D620D56
	v_mfma_f32_16x16x32_fp8_fp8 v[104:107], a[88:89], a[0:1], v[104:107]// 0000000062C0: D3F30068 1DA20158
	buffer_load_dwordx4 a[68:71], v52, s[24:27], 0 offen offset:1024// 0000000062C8: E05C1400 80864434
	v_mfma_f32_16x16x32_fp8_fp8 v[104:107], a[90:91], a[2:3], v[104:107]// 0000000062D0: D3F30068 1DA2055A
	v_mfma_f32_16x16x32_fp8_fp8 v[104:107], a[92:93], a[4:5], v[104:107]// 0000000062D8: D3F30068 1DA2095C
	ds_read_b128 a[40:43], v2 offset:8832                      // 0000000062E0: DBFE2280 28000002
	ds_read_b128 a[44:47], v2 offset:8896                      // 0000000062E8: DBFE22C0 2C000002
	v_mfma_f32_16x16x32_fp8_fp8 v[104:107], a[94:95], a[6:7], v[104:107]// 0000000062F0: D3F30068 1DA20D5E
	v_mfma_f32_16x16x32_fp8_fp8 v[92:95], a[80:81], a[8:9], v[92:95]// 0000000062F8: D3F3005C 1D721150
	buffer_load_dwordx4 a[72:75], v53, s[24:27], 0 offen       // 000000006300: E05C1000 80864835
	v_mfma_f32_16x16x32_fp8_fp8 v[92:95], a[82:83], a[10:11], v[92:95]// 000000006308: D3F3005C 1D721552
	v_mfma_f32_16x16x32_fp8_fp8 v[92:95], a[84:85], a[12:13], v[92:95]// 000000006310: D3F3005C 1D721954
	ds_read_b128 a[48:51], v2 offset:9344                      // 000000006318: DBFE2480 30000002
	ds_read_b128 a[52:55], v2 offset:9408                      // 000000006320: DBFE24C0 34000002
	v_mfma_f32_16x16x32_fp8_fp8 v[92:95], a[86:87], a[14:15], v[92:95]// 000000006328: D3F3005C 1D721D56
	v_mfma_f32_16x16x32_fp8_fp8 v[108:111], a[88:89], a[8:9], v[108:111]// 000000006330: D3F3006C 1DB21158
	buffer_load_dwordx4 a[76:79], v53, s[24:27], 0 offen offset:1024// 000000006338: E05C1400 80864C35
	v_mfma_f32_16x16x32_fp8_fp8 v[108:111], a[90:91], a[10:11], v[108:111]// 000000006340: D3F3006C 1DB2155A
	v_mfma_f32_16x16x32_fp8_fp8 v[108:111], a[92:93], a[12:13], v[108:111]// 000000006348: D3F3006C 1DB2195C
	ds_read_b128 a[56:59], v2 offset:9856                      // 000000006350: DBFE2680 38000002
	ds_read_b128 a[60:63], v2 offset:9920                      // 000000006358: DBFE26C0 3C000002
	v_mfma_f32_16x16x32_fp8_fp8 v[108:111], a[94:95], a[14:15], v[108:111]// 000000006360: D3F3006C 1DB21D5E
	v_mfma_f32_16x16x32_fp8_fp8 v[96:99], a[80:81], a[16:17], v[96:99]// 000000006368: D3F30060 1D822150
	v_mfma_f32_16x16x32_fp8_fp8 v[96:99], a[82:83], a[18:19], v[96:99]// 000000006370: D3F30060 1D822552
	v_mfma_f32_16x16x32_fp8_fp8 v[96:99], a[84:85], a[20:21], v[96:99]// 000000006378: D3F30060 1D822954
	v_mfma_f32_16x16x32_fp8_fp8 v[96:99], a[86:87], a[22:23], v[96:99]// 000000006380: D3F30060 1D822D56
	v_mfma_f32_16x16x32_fp8_fp8 v[112:115], a[88:89], a[16:17], v[112:115]// 000000006388: D3F30070 1DC22158
	v_mfma_f32_16x16x32_fp8_fp8 v[112:115], a[90:91], a[18:19], v[112:115]// 000000006390: D3F30070 1DC2255A
	v_mfma_f32_16x16x32_fp8_fp8 v[112:115], a[92:93], a[20:21], v[112:115]// 000000006398: D3F30070 1DC2295C
	v_mfma_f32_16x16x32_fp8_fp8 v[112:115], a[94:95], a[22:23], v[112:115]// 0000000063A0: D3F30070 1DC22D5E
	v_mfma_f32_16x16x32_fp8_fp8 v[100:103], a[80:81], a[24:25], v[100:103]// 0000000063A8: D3F30064 1D923150
	v_mfma_f32_16x16x32_fp8_fp8 v[100:103], a[82:83], a[26:27], v[100:103]// 0000000063B0: D3F30064 1D923552
	v_mfma_f32_16x16x32_fp8_fp8 v[100:103], a[84:85], a[28:29], v[100:103]// 0000000063B8: D3F30064 1D923954
	s_add_u32 s60, 0x180, s80                                  // 0000000063C0: 803C50FF 00000180
	s_cmp_lt_u32 s60, s81                                      // 0000000063C8: BF0A513C
	s_cselect_b32 s57, s57, 0                                  // 0000000063CC: 85398039
	v_mfma_f32_16x16x32_fp8_fp8 v[100:103], a[86:87], a[30:31], v[100:103]// 0000000063D0: D3F30064 1D923D56
	s_add_u32 s60, 0x100, s80                                  // 0000000063D8: 803C50FF 00000100
	s_cmp_lt_u32 s60, s81                                      // 0000000063E0: BF0A513C
	s_cselect_b32 s58, s58, 0                                  // 0000000063E4: 853A803A
	v_mfma_f32_16x16x32_fp8_fp8 v[116:119], a[88:89], a[24:25], v[116:119]// 0000000063E8: D3F30074 1DD23158
	s_add_u32 s24, s58, s24                                    // 0000000063F0: 8018183A
	s_addc_u32 s25, 0, s25                                     // 0000000063F4: 82191980
	v_mfma_f32_16x16x32_fp8_fp8 v[116:119], a[90:91], a[26:27], v[116:119]// 0000000063F8: D3F30074 1DD2355A
	s_add_u32 s20, s57, s20                                    // 000000006400: 80141439
	s_addc_u32 s21, 0, s21                                     // 000000006404: 82151580
	v_mfma_f32_16x16x32_fp8_fp8 v[116:119], a[92:93], a[28:29], v[116:119]// 000000006408: D3F30074 1DD2395C
	s_add_u32 s84, s83, s84                                    // 000000006410: 80545453
	s_addc_u32 s85, 0, s85                                     // 000000006414: 82555580
	v_mfma_f32_16x16x32_fp8_fp8 v[116:119], a[94:95], a[30:31], v[116:119]// 000000006418: D3F30074 1DD23D5E
	s_addk_i32 s80, 0x80                                       // 000000006420: B7500080
	s_cmp_lt_i32 s80, s81                                      // 000000006424: BF045150
	s_cbranch_scc0 label_0F67                                  // 000000006428: BF8400D9
	s_waitcnt vmcnt(2) lgkmcnt(0)                              // 00000000642C: BF8C0072
	s_barrier                                                  // 000000006430: BF8A0000
	v_mfma_f32_16x16x32_fp8_fp8 v[56:59], a[64:65], a[32:33], v[56:59]// 000000006434: D3F30038 1CE24140
	buffer_load_dwordx4 a[80:83], v52, s[84:87], 0 offen       // 00000000643C: E05C1000 80955034
	v_mfma_f32_16x16x32_fp8_fp8 v[56:59], a[66:67], a[34:35], v[56:59]// 000000006444: D3F30038 1CE24542
	v_mfma_f32_16x16x32_fp8_fp8 v[56:59], a[68:69], a[36:37], v[56:59]// 00000000644C: D3F30038 1CE24944
	v_mfma_f32_16x16x32_fp8_fp8 v[56:59], a[70:71], a[38:39], v[56:59]// 000000006454: D3F30038 1CE24D46
	v_mfma_f32_16x16x32_fp8_fp8 v[60:63], a[64:65], a[40:41], v[60:63]// 00000000645C: D3F3003C 1CF25140
	buffer_load_dwordx4 a[84:87], v52, s[84:87], 0 offen offset:1024// 000000006464: E05C1400 80955434
	v_mfma_f32_16x16x32_fp8_fp8 v[60:63], a[66:67], a[42:43], v[60:63]// 00000000646C: D3F3003C 1CF25542
	v_mfma_f32_16x16x32_fp8_fp8 v[60:63], a[68:69], a[44:45], v[60:63]// 000000006474: D3F3003C 1CF25944
	v_mfma_f32_16x16x32_fp8_fp8 v[60:63], a[70:71], a[46:47], v[60:63]// 00000000647C: D3F3003C 1CF25D46
	v_mfma_f32_16x16x32_fp8_fp8 v[64:67], a[64:65], a[48:49], v[64:67]// 000000006484: D3F30040 1D026140
	buffer_load_dwordx4 a[88:91], v53, s[84:87], 0 offen       // 00000000648C: E05C1000 80955835
	v_mfma_f32_16x16x32_fp8_fp8 v[64:67], a[66:67], a[50:51], v[64:67]// 000000006494: D3F30040 1D026542
	v_mfma_f32_16x16x32_fp8_fp8 v[64:67], a[68:69], a[52:53], v[64:67]// 00000000649C: D3F30040 1D026944
	v_mfma_f32_16x16x32_fp8_fp8 v[64:67], a[70:71], a[54:55], v[64:67]// 0000000064A4: D3F30040 1D026D46
	v_mfma_f32_16x16x32_fp8_fp8 v[68:71], a[64:65], a[56:57], v[68:71]// 0000000064AC: D3F30044 1D127140
	buffer_load_dwordx4 a[92:95], v53, s[84:87], 0 offen offset:1024// 0000000064B4: E05C1400 80955C35
	buffer_load_dword v44, s[20:23], 0 offen lds               // 0000000064BC: E0511000 8005002C
	s_add_u32 m0, 0x100, s49                                   // 0000000064C4: 807C31FF 00000100
	v_mfma_f32_16x16x32_fp8_fp8 v[68:71], a[66:67], a[58:59], v[68:71]// 0000000064CC: D3F30044 1D127542
	v_mfma_f32_16x16x32_fp8_fp8 v[68:71], a[68:69], a[60:61], v[68:71]// 0000000064D4: D3F30044 1D127944
	buffer_load_dword v45, s[20:23], 0 offen lds               // 0000000064DC: E0511000 8005002D
	s_add_u32 m0, 0x200, s49                                   // 0000000064E4: 807C31FF 00000200
	v_mfma_f32_16x16x32_fp8_fp8 v[68:71], a[70:71], a[62:63], v[68:71]// 0000000064EC: D3F30044 1D127D46
	s_waitcnt vmcnt(6)                                         // 0000000064F4: BF8C0F76
	v_mfma_f32_16x16x32_fp8_fp8 v[72:75], a[72:73], a[32:33], v[72:75]// 0000000064F8: D3F30048 1D224148
	buffer_load_dword v46, s[20:23], 0 offen lds               // 000000006500: E0511000 8005002E
	s_add_u32 m0, 0x300, s49                                   // 000000006508: 807C31FF 00000300
	v_mfma_f32_16x16x32_fp8_fp8 v[72:75], a[74:75], a[34:35], v[72:75]// 000000006510: D3F30048 1D22454A
	v_mfma_f32_16x16x32_fp8_fp8 v[72:75], a[76:77], a[36:37], v[72:75]// 000000006518: D3F30048 1D22494C
	buffer_load_dword v47, s[20:23], 0 offen lds               // 000000006520: E0511000 8005002F
	s_add_u32 m0, 0x400, s49                                   // 000000006528: 807C31FF 00000400
	v_mfma_f32_16x16x32_fp8_fp8 v[72:75], a[78:79], a[38:39], v[72:75]// 000000006530: D3F30048 1D224D4E
	v_mfma_f32_16x16x32_fp8_fp8 v[76:79], a[72:73], a[40:41], v[76:79]// 000000006538: D3F3004C 1D325148
	buffer_load_dword v48, s[20:23], 0 offen lds               // 000000006540: E0511000 80050030
	s_add_u32 m0, 0x500, s49                                   // 000000006548: 807C31FF 00000500
	v_mfma_f32_16x16x32_fp8_fp8 v[76:79], a[74:75], a[42:43], v[76:79]// 000000006550: D3F3004C 1D32554A
	v_mfma_f32_16x16x32_fp8_fp8 v[76:79], a[76:77], a[44:45], v[76:79]// 000000006558: D3F3004C 1D32594C
	buffer_load_dword v49, s[20:23], 0 offen lds               // 000000006560: E0511000 80050031
	s_add_u32 m0, 0x600, s49                                   // 000000006568: 807C31FF 00000600
	v_mfma_f32_16x16x32_fp8_fp8 v[76:79], a[78:79], a[46:47], v[76:79]// 000000006570: D3F3004C 1D325D4E
	v_mfma_f32_16x16x32_fp8_fp8 v[80:83], a[72:73], a[48:49], v[80:83]// 000000006578: D3F30050 1D426148
	buffer_load_dword v50, s[20:23], 0 offen lds               // 000000006580: E0511000 80050032
	s_add_u32 m0, 0x700, s49                                   // 000000006588: 807C31FF 00000700
	v_mfma_f32_16x16x32_fp8_fp8 v[80:83], a[74:75], a[50:51], v[80:83]// 000000006590: D3F30050 1D42654A
	v_mfma_f32_16x16x32_fp8_fp8 v[80:83], a[76:77], a[52:53], v[80:83]// 000000006598: D3F30050 1D42694C
	buffer_load_dword v51, s[20:23], 0 offen lds               // 0000000065A0: E0511000 80050033
	s_add_u32 m0, 0, s48                                       // 0000000065A8: 807C3080
	v_mfma_f32_16x16x32_fp8_fp8 v[80:83], a[78:79], a[54:55], v[80:83]// 0000000065AC: D3F30050 1D426D4E
	v_mfma_f32_16x16x32_fp8_fp8 v[84:87], a[72:73], a[56:57], v[84:87]// 0000000065B4: D3F30054 1D527148
	v_mfma_f32_16x16x32_fp8_fp8 v[84:87], a[74:75], a[58:59], v[84:87]// 0000000065BC: D3F30054 1D52754A
	s_add_u32 s60, 0x80, s80                                   // 0000000065C4: 803C50FF 00000080
	s_cmp_lt_u32 s60, s81                                      // 0000000065CC: BF0A513C
	s_cselect_b32 s83, s83, 0                                  // 0000000065D0: 85538053
	v_mfma_f32_16x16x32_fp8_fp8 v[84:87], a[76:77], a[60:61], v[84:87]// 0000000065D4: D3F30054 1D52794C
	v_mfma_f32_16x16x32_fp8_fp8 v[84:87], a[78:79], a[62:63], v[84:87]// 0000000065DC: D3F30054 1D527D4E
	s_waitcnt vmcnt(8)                                         // 0000000065E4: BF8C0F78
	v_mfma_f32_16x16x32_fp8_fp8 v[88:91], a[80:81], a[32:33], v[88:91]// 0000000065E8: D3F30058 1D624150
	buffer_load_dwordx4 a[64:67], v52, s[24:27], 0 offen       // 0000000065F0: E05C1000 80864034
	v_mfma_f32_16x16x32_fp8_fp8 v[88:91], a[82:83], a[34:35], v[88:91]// 0000000065F8: D3F30058 1D624552
	v_mfma_f32_16x16x32_fp8_fp8 v[88:91], a[84:85], a[36:37], v[88:91]// 000000006600: D3F30058 1D624954
	ds_read_b128 a[0:3], v2                                    // 000000006608: DBFE0000 00000002
	ds_read_b128 a[4:7], v2 offset:64                          // 000000006610: DBFE0040 04000002
	v_mfma_f32_16x16x32_fp8_fp8 v[88:91], a[86:87], a[38:39], v[88:91]// 000000006618: D3F30058 1D624D56
	v_mfma_f32_16x16x32_fp8_fp8 v[104:107], a[88:89], a[32:33], v[104:107]// 000000006620: D3F30068 1DA24158
	buffer_load_dwordx4 a[68:71], v52, s[24:27], 0 offen offset:1024// 000000006628: E05C1400 80864434
	v_mfma_f32_16x16x32_fp8_fp8 v[104:107], a[90:91], a[34:35], v[104:107]// 000000006630: D3F30068 1DA2455A
	v_mfma_f32_16x16x32_fp8_fp8 v[104:107], a[92:93], a[36:37], v[104:107]// 000000006638: D3F30068 1DA2495C
	ds_read_b128 a[8:11], v2 offset:512                        // 000000006640: DBFE0200 08000002
	ds_read_b128 a[12:15], v2 offset:576                       // 000000006648: DBFE0240 0C000002
	v_mfma_f32_16x16x32_fp8_fp8 v[104:107], a[94:95], a[38:39], v[104:107]// 000000006650: D3F30068 1DA24D5E
	v_mfma_f32_16x16x32_fp8_fp8 v[92:95], a[80:81], a[40:41], v[92:95]// 000000006658: D3F3005C 1D725150
	buffer_load_dwordx4 a[72:75], v53, s[24:27], 0 offen       // 000000006660: E05C1000 80864835
	v_mfma_f32_16x16x32_fp8_fp8 v[92:95], a[82:83], a[42:43], v[92:95]// 000000006668: D3F3005C 1D725552
	v_mfma_f32_16x16x32_fp8_fp8 v[92:95], a[84:85], a[44:45], v[92:95]// 000000006670: D3F3005C 1D725954
	ds_read_b128 a[16:19], v2 offset:1024                      // 000000006678: DBFE0400 10000002
	ds_read_b128 a[20:23], v2 offset:1088                      // 000000006680: DBFE0440 14000002
	v_mfma_f32_16x16x32_fp8_fp8 v[92:95], a[86:87], a[46:47], v[92:95]// 000000006688: D3F3005C 1D725D56
	v_mfma_f32_16x16x32_fp8_fp8 v[108:111], a[88:89], a[40:41], v[108:111]// 000000006690: D3F3006C 1DB25158
	buffer_load_dwordx4 a[76:79], v53, s[24:27], 0 offen offset:1024// 000000006698: E05C1400 80864C35
	v_mfma_f32_16x16x32_fp8_fp8 v[108:111], a[90:91], a[42:43], v[108:111]// 0000000066A0: D3F3006C 1DB2555A
	v_mfma_f32_16x16x32_fp8_fp8 v[108:111], a[92:93], a[44:45], v[108:111]// 0000000066A8: D3F3006C 1DB2595C
	ds_read_b128 a[24:27], v2 offset:1536                      // 0000000066B0: DBFE0600 18000002
	ds_read_b128 a[28:31], v2 offset:1600                      // 0000000066B8: DBFE0640 1C000002
	v_mfma_f32_16x16x32_fp8_fp8 v[108:111], a[94:95], a[46:47], v[108:111]// 0000000066C0: D3F3006C 1DB25D5E
	v_mfma_f32_16x16x32_fp8_fp8 v[96:99], a[80:81], a[48:49], v[96:99]// 0000000066C8: D3F30060 1D826150
	v_mfma_f32_16x16x32_fp8_fp8 v[96:99], a[82:83], a[50:51], v[96:99]// 0000000066D0: D3F30060 1D826552
	v_mfma_f32_16x16x32_fp8_fp8 v[96:99], a[84:85], a[52:53], v[96:99]// 0000000066D8: D3F30060 1D826954
	v_mfma_f32_16x16x32_fp8_fp8 v[96:99], a[86:87], a[54:55], v[96:99]// 0000000066E0: D3F30060 1D826D56
	v_mfma_f32_16x16x32_fp8_fp8 v[112:115], a[88:89], a[48:49], v[112:115]// 0000000066E8: D3F30070 1DC26158
	v_mfma_f32_16x16x32_fp8_fp8 v[112:115], a[90:91], a[50:51], v[112:115]// 0000000066F0: D3F30070 1DC2655A
	v_mfma_f32_16x16x32_fp8_fp8 v[112:115], a[92:93], a[52:53], v[112:115]// 0000000066F8: D3F30070 1DC2695C
	v_mfma_f32_16x16x32_fp8_fp8 v[112:115], a[94:95], a[54:55], v[112:115]// 000000006700: D3F30070 1DC26D5E
	v_mfma_f32_16x16x32_fp8_fp8 v[100:103], a[80:81], a[56:57], v[100:103]// 000000006708: D3F30064 1D927150
	v_mfma_f32_16x16x32_fp8_fp8 v[100:103], a[82:83], a[58:59], v[100:103]// 000000006710: D3F30064 1D927552
	v_mfma_f32_16x16x32_fp8_fp8 v[100:103], a[84:85], a[60:61], v[100:103]// 000000006718: D3F30064 1D927954
	s_add_u32 s60, 0x180, s80                                  // 000000006720: 803C50FF 00000180
	s_cmp_lt_u32 s60, s81                                      // 000000006728: BF0A513C
	s_cselect_b32 s57, s57, 0                                  // 00000000672C: 85398039
	v_mfma_f32_16x16x32_fp8_fp8 v[100:103], a[86:87], a[62:63], v[100:103]// 000000006730: D3F30064 1D927D56
	s_add_u32 s60, 0x100, s80                                  // 000000006738: 803C50FF 00000100
	s_cmp_lt_u32 s60, s81                                      // 000000006740: BF0A513C
	s_cselect_b32 s58, s58, 0                                  // 000000006744: 853A803A
	v_mfma_f32_16x16x32_fp8_fp8 v[116:119], a[88:89], a[56:57], v[116:119]// 000000006748: D3F30074 1DD27158
	s_add_u32 s24, s58, s24                                    // 000000006750: 8018183A
	s_addc_u32 s25, 0, s25                                     // 000000006754: 82191980
	v_mfma_f32_16x16x32_fp8_fp8 v[116:119], a[90:91], a[58:59], v[116:119]// 000000006758: D3F30074 1DD2755A
	s_add_u32 s20, s57, s20                                    // 000000006760: 80141439
	s_addc_u32 s21, 0, s21                                     // 000000006764: 82151580
	v_mfma_f32_16x16x32_fp8_fp8 v[116:119], a[92:93], a[60:61], v[116:119]// 000000006768: D3F30074 1DD2795C
	s_add_u32 s84, s83, s84                                    // 000000006770: 80545453
	s_addc_u32 s85, 0, s85                                     // 000000006774: 82555580
	v_mfma_f32_16x16x32_fp8_fp8 v[116:119], a[94:95], a[62:63], v[116:119]// 000000006778: D3F30074 1DD27D5E
	s_addk_i32 s80, 0x80                                       // 000000006780: B7500080
	s_cmp_lt_i32 s80, s81                                      // 000000006784: BF045150
	s_cbranch_scc0 label_0F67                                  // 000000006788: BF840001
	s_branch label_0DB6                                        // 00000000678C: BF82FE4F

0000000000006790 <label_0F67>:
	v_mul_f32_dpp v56, v24, v56 row_newbcast:0 row_mask:0xf bank_mask:0xf// 000000006790: 0A7070FA FF015018
	v_mul_f32_dpp v57, v24, v57 row_newbcast:1 row_mask:0xf bank_mask:0xf// 000000006798: 0A7272FA FF015118
	v_mul_f32_dpp v58, v24, v58 row_newbcast:2 row_mask:0xf bank_mask:0xf// 0000000067A0: 0A7474FA FF015218
	v_mul_f32_dpp v59, v24, v59 row_newbcast:3 row_mask:0xf bank_mask:0xf// 0000000067A8: 0A7676FA FF015318
	v_mul_f32_dpp v60, v24, v60 row_newbcast:0 row_mask:0xf bank_mask:0xf// 0000000067B0: 0A7878FA FF015018
	v_mul_f32_dpp v61, v24, v61 row_newbcast:1 row_mask:0xf bank_mask:0xf// 0000000067B8: 0A7A7AFA FF015118
	v_mul_f32_dpp v62, v24, v62 row_newbcast:2 row_mask:0xf bank_mask:0xf// 0000000067C0: 0A7C7CFA FF015218
	v_mul_f32_dpp v63, v24, v63 row_newbcast:3 row_mask:0xf bank_mask:0xf// 0000000067C8: 0A7E7EFA FF015318
	v_mul_f32_dpp v64, v24, v64 row_newbcast:0 row_mask:0xf bank_mask:0xf// 0000000067D0: 0A8080FA FF015018
	v_mul_f32_dpp v65, v24, v65 row_newbcast:1 row_mask:0xf bank_mask:0xf// 0000000067D8: 0A8282FA FF015118
	v_mul_f32_dpp v66, v24, v66 row_newbcast:2 row_mask:0xf bank_mask:0xf// 0000000067E0: 0A8484FA FF015218
	v_mul_f32_dpp v67, v24, v67 row_newbcast:3 row_mask:0xf bank_mask:0xf// 0000000067E8: 0A8686FA FF015318
	v_mul_f32_dpp v68, v24, v68 row_newbcast:0 row_mask:0xf bank_mask:0xf// 0000000067F0: 0A8888FA FF015018
	v_mul_f32_dpp v69, v24, v69 row_newbcast:1 row_mask:0xf bank_mask:0xf// 0000000067F8: 0A8A8AFA FF015118
	v_mul_f32_dpp v70, v24, v70 row_newbcast:2 row_mask:0xf bank_mask:0xf// 000000006800: 0A8C8CFA FF015218
	v_mul_f32_dpp v71, v24, v71 row_newbcast:3 row_mask:0xf bank_mask:0xf// 000000006808: 0A8E8EFA FF015318
	v_mul_f32_dpp v72, v24, v72 row_newbcast:4 row_mask:0xf bank_mask:0xf// 000000006810: 0A9090FA FF015418
	v_mul_f32_dpp v73, v24, v73 row_newbcast:5 row_mask:0xf bank_mask:0xf// 000000006818: 0A9292FA FF015518
	v_mul_f32_dpp v74, v24, v74 row_newbcast:6 row_mask:0xf bank_mask:0xf// 000000006820: 0A9494FA FF015618
	v_mul_f32_dpp v75, v24, v75 row_newbcast:7 row_mask:0xf bank_mask:0xf// 000000006828: 0A9696FA FF015718
	v_mul_f32_dpp v76, v24, v76 row_newbcast:4 row_mask:0xf bank_mask:0xf// 000000006830: 0A9898FA FF015418
	v_mul_f32_dpp v77, v24, v77 row_newbcast:5 row_mask:0xf bank_mask:0xf// 000000006838: 0A9A9AFA FF015518
	v_mul_f32_dpp v78, v24, v78 row_newbcast:6 row_mask:0xf bank_mask:0xf// 000000006840: 0A9C9CFA FF015618
	v_mul_f32_dpp v79, v24, v79 row_newbcast:7 row_mask:0xf bank_mask:0xf// 000000006848: 0A9E9EFA FF015718
	v_mul_f32_dpp v80, v24, v80 row_newbcast:4 row_mask:0xf bank_mask:0xf// 000000006850: 0AA0A0FA FF015418
	v_mul_f32_dpp v81, v24, v81 row_newbcast:5 row_mask:0xf bank_mask:0xf// 000000006858: 0AA2A2FA FF015518
	v_mul_f32_dpp v82, v24, v82 row_newbcast:6 row_mask:0xf bank_mask:0xf// 000000006860: 0AA4A4FA FF015618
	v_mul_f32_dpp v83, v24, v83 row_newbcast:7 row_mask:0xf bank_mask:0xf// 000000006868: 0AA6A6FA FF015718
	v_mul_f32_dpp v84, v24, v84 row_newbcast:4 row_mask:0xf bank_mask:0xf// 000000006870: 0AA8A8FA FF015418
	v_mul_f32_dpp v85, v24, v85 row_newbcast:5 row_mask:0xf bank_mask:0xf// 000000006878: 0AAAAAFA FF015518
	v_mul_f32_dpp v86, v24, v86 row_newbcast:6 row_mask:0xf bank_mask:0xf// 000000006880: 0AACACFA FF015618
	v_mul_f32_dpp v87, v24, v87 row_newbcast:7 row_mask:0xf bank_mask:0xf// 000000006888: 0AAEAEFA FF015718
	v_mul_f32_dpp v88, v26, v88 row_newbcast:0 row_mask:0xf bank_mask:0xf// 000000006890: 0AB0B0FA FF01501A
	v_mul_f32_dpp v89, v26, v89 row_newbcast:1 row_mask:0xf bank_mask:0xf// 000000006898: 0AB2B2FA FF01511A
	v_mul_f32_dpp v90, v26, v90 row_newbcast:2 row_mask:0xf bank_mask:0xf// 0000000068A0: 0AB4B4FA FF01521A
	v_mul_f32_dpp v91, v26, v91 row_newbcast:3 row_mask:0xf bank_mask:0xf// 0000000068A8: 0AB6B6FA FF01531A
	v_mul_f32_dpp v92, v26, v92 row_newbcast:0 row_mask:0xf bank_mask:0xf// 0000000068B0: 0AB8B8FA FF01501A
	v_mul_f32_dpp v93, v26, v93 row_newbcast:1 row_mask:0xf bank_mask:0xf// 0000000068B8: 0ABABAFA FF01511A
	v_mul_f32_dpp v94, v26, v94 row_newbcast:2 row_mask:0xf bank_mask:0xf// 0000000068C0: 0ABCBCFA FF01521A
	v_mul_f32_dpp v95, v26, v95 row_newbcast:3 row_mask:0xf bank_mask:0xf// 0000000068C8: 0ABEBEFA FF01531A
	v_mul_f32_dpp v96, v26, v96 row_newbcast:0 row_mask:0xf bank_mask:0xf// 0000000068D0: 0AC0C0FA FF01501A
	v_mul_f32_dpp v97, v26, v97 row_newbcast:1 row_mask:0xf bank_mask:0xf// 0000000068D8: 0AC2C2FA FF01511A
	v_mul_f32_dpp v98, v26, v98 row_newbcast:2 row_mask:0xf bank_mask:0xf// 0000000068E0: 0AC4C4FA FF01521A
	v_mul_f32_dpp v99, v26, v99 row_newbcast:3 row_mask:0xf bank_mask:0xf// 0000000068E8: 0AC6C6FA FF01531A
	v_mul_f32_dpp v100, v26, v100 row_newbcast:0 row_mask:0xf bank_mask:0xf// 0000000068F0: 0AC8C8FA FF01501A
	v_mul_f32_dpp v101, v26, v101 row_newbcast:1 row_mask:0xf bank_mask:0xf// 0000000068F8: 0ACACAFA FF01511A
	v_mul_f32_dpp v102, v26, v102 row_newbcast:2 row_mask:0xf bank_mask:0xf// 000000006900: 0ACCCCFA FF01521A
	v_mul_f32_dpp v103, v26, v103 row_newbcast:3 row_mask:0xf bank_mask:0xf// 000000006908: 0ACECEFA FF01531A
	v_mul_f32_dpp v104, v26, v104 row_newbcast:4 row_mask:0xf bank_mask:0xf// 000000006910: 0AD0D0FA FF01541A
	v_mul_f32_dpp v105, v26, v105 row_newbcast:5 row_mask:0xf bank_mask:0xf// 000000006918: 0AD2D2FA FF01551A
	v_mul_f32_dpp v106, v26, v106 row_newbcast:6 row_mask:0xf bank_mask:0xf// 000000006920: 0AD4D4FA FF01561A
	v_mul_f32_dpp v107, v26, v107 row_newbcast:7 row_mask:0xf bank_mask:0xf// 000000006928: 0AD6D6FA FF01571A
	v_mul_f32_dpp v108, v26, v108 row_newbcast:4 row_mask:0xf bank_mask:0xf// 000000006930: 0AD8D8FA FF01541A
	v_mul_f32_dpp v109, v26, v109 row_newbcast:5 row_mask:0xf bank_mask:0xf// 000000006938: 0ADADAFA FF01551A
	v_mul_f32_dpp v110, v26, v110 row_newbcast:6 row_mask:0xf bank_mask:0xf// 000000006940: 0ADCDCFA FF01561A
	v_mul_f32_dpp v111, v26, v111 row_newbcast:7 row_mask:0xf bank_mask:0xf// 000000006948: 0ADEDEFA FF01571A
	v_mul_f32_dpp v112, v26, v112 row_newbcast:4 row_mask:0xf bank_mask:0xf// 000000006950: 0AE0E0FA FF01541A
	v_mul_f32_dpp v113, v26, v113 row_newbcast:5 row_mask:0xf bank_mask:0xf// 000000006958: 0AE2E2FA FF01551A
	v_mul_f32_dpp v114, v26, v114 row_newbcast:6 row_mask:0xf bank_mask:0xf// 000000006960: 0AE4E4FA FF01561A
	v_mul_f32_dpp v115, v26, v115 row_newbcast:7 row_mask:0xf bank_mask:0xf// 000000006968: 0AE6E6FA FF01571A
	v_mul_f32_dpp v116, v26, v116 row_newbcast:4 row_mask:0xf bank_mask:0xf// 000000006970: 0AE8E8FA FF01541A
	v_mul_f32_dpp v117, v26, v117 row_newbcast:5 row_mask:0xf bank_mask:0xf// 000000006978: 0AEAEAFA FF01551A
	v_mul_f32_dpp v118, v26, v118 row_newbcast:6 row_mask:0xf bank_mask:0xf// 000000006980: 0AECECFA FF01561A
	v_mul_f32_dpp v119, v26, v119 row_newbcast:7 row_mask:0xf bank_mask:0xf// 000000006988: 0AEEEEFA FF01571A
	v_mov_b32_e32 v4, v32                                      // 000000006990: 7E080320
	v_mov_b32_e32 v5, v4                                       // 000000006994: 7E0A0304
	v_pk_mul_f32 v[56:57], v[4:5], v[56:57]                    // 000000006998: D3B14038 18027104
	v_pk_mul_f32 v[88:89], v[4:5], v[88:89]                    // 0000000069A0: D3B14058 1802B104
	v_pk_mul_f32 v[58:59], v[4:5], v[58:59]                    // 0000000069A8: D3B1403A 18027504
	v_pk_mul_f32 v[90:91], v[4:5], v[90:91]                    // 0000000069B0: D3B1405A 1802B504
	v_pk_mul_f32 v[72:73], v[4:5], v[72:73]                    // 0000000069B8: D3B14048 18029104
	v_pk_mul_f32 v[104:105], v[4:5], v[104:105]                // 0000000069C0: D3B14068 1802D104
	v_pk_mul_f32 v[74:75], v[4:5], v[74:75]                    // 0000000069C8: D3B1404A 18029504
	v_pk_mul_f32 v[106:107], v[4:5], v[106:107]                // 0000000069D0: D3B1406A 1802D504
	v_mov_b32_e32 v4, v33                                      // 0000000069D8: 7E080321
	v_mov_b32_e32 v5, v4                                       // 0000000069DC: 7E0A0304
	v_pk_mul_f32 v[60:61], v[4:5], v[60:61]                    // 0000000069E0: D3B1403C 18027904
	v_pk_mul_f32 v[92:93], v[4:5], v[92:93]                    // 0000000069E8: D3B1405C 1802B904
	v_pk_mul_f32 v[62:63], v[4:5], v[62:63]                    // 0000000069F0: D3B1403E 18027D04
	v_pk_mul_f32 v[94:95], v[4:5], v[94:95]                    // 0000000069F8: D3B1405E 1802BD04
	v_pk_mul_f32 v[76:77], v[4:5], v[76:77]                    // 000000006A00: D3B1404C 18029904
	v_pk_mul_f32 v[108:109], v[4:5], v[108:109]                // 000000006A08: D3B1406C 1802D904
	v_pk_mul_f32 v[78:79], v[4:5], v[78:79]                    // 000000006A10: D3B1404E 18029D04
	v_pk_mul_f32 v[110:111], v[4:5], v[110:111]                // 000000006A18: D3B1406E 1802DD04
	v_mov_b32_e32 v4, v34                                      // 000000006A20: 7E080322
	v_mov_b32_e32 v5, v4                                       // 000000006A24: 7E0A0304
	v_pk_mul_f32 v[64:65], v[4:5], v[64:65]                    // 000000006A28: D3B14040 18028104
	v_pk_mul_f32 v[96:97], v[4:5], v[96:97]                    // 000000006A30: D3B14060 1802C104
	v_pk_mul_f32 v[66:67], v[4:5], v[66:67]                    // 000000006A38: D3B14042 18028504
	v_pk_mul_f32 v[98:99], v[4:5], v[98:99]                    // 000000006A40: D3B14062 1802C504
	v_pk_mul_f32 v[80:81], v[4:5], v[80:81]                    // 000000006A48: D3B14050 1802A104
	v_pk_mul_f32 v[112:113], v[4:5], v[112:113]                // 000000006A50: D3B14070 1802E104
	v_pk_mul_f32 v[82:83], v[4:5], v[82:83]                    // 000000006A58: D3B14052 1802A504
	v_pk_mul_f32 v[114:115], v[4:5], v[114:115]                // 000000006A60: D3B14072 1802E504
	v_mov_b32_e32 v4, v35                                      // 000000006A68: 7E080323
	v_mov_b32_e32 v5, v4                                       // 000000006A6C: 7E0A0304
	v_pk_mul_f32 v[68:69], v[4:5], v[68:69]                    // 000000006A70: D3B14044 18028904
	v_pk_mul_f32 v[100:101], v[4:5], v[100:101]                // 000000006A78: D3B14064 1802C904
	v_pk_mul_f32 v[70:71], v[4:5], v[70:71]                    // 000000006A80: D3B14046 18028D04
	v_pk_mul_f32 v[102:103], v[4:5], v[102:103]                // 000000006A88: D3B14066 1802CD04
	v_pk_mul_f32 v[84:85], v[4:5], v[84:85]                    // 000000006A90: D3B14054 1802A904
	v_pk_mul_f32 v[116:117], v[4:5], v[116:117]                // 000000006A98: D3B14074 1802E904
	v_pk_mul_f32 v[86:87], v[4:5], v[86:87]                    // 000000006AA0: D3B14056 1802AD04
	v_pk_mul_f32 v[118:119], v[4:5], v[118:119]                // 000000006AA8: D3B14076 1802ED04
	s_cmp_eq_u32 s88, 0                                        // 000000006AB0: BF068058
	s_cbranch_scc0 label_14F2                                  // 000000006AB4: BF8404C1
	s_cmp_eq_u32 s89, 0                                        // 000000006AB8: BF068059
	s_cbranch_scc1 label_1178                                  // 000000006ABC: BF850145
	v_mov_b32_e32 v8, v1                                       // 000000006AC0: 7E100301
	v_mov_b32_e32 v9, v1                                       // 000000006AC4: 7E120301
	s_mov_b32 s60, s6                                          // 000000006AC8: BEBC0006
	s_mov_b32 s61, s6                                          // 000000006ACC: BEBD0006
	v_pk_mul_f32 v[4:5], v[56:57], v[56:57]                    // 000000006AD0: D3B14004 18027138
	v_pk_mul_f32 v[6:7], v[58:59], v[58:59]                    // 000000006AD8: D3B14006 1802753A
	v_pk_fma_f32 v[4:5], v[4:5], s[78:79], v[8:9]              // 000000006AE0: D3B04004 1C209D04
	v_pk_fma_f32 v[6:7], v[6:7], s[78:79], v[8:9]              // 000000006AE8: D3B04006 1C209D06
	v_pk_mul_f32 v[4:5], v[4:5], v[56:57]                      // 000000006AF0: D3B14004 18027104
	v_pk_mul_f32 v[6:7], v[6:7], v[58:59]                      // 000000006AF8: D3B14006 18027506
	v_pk_mul_f32 v[4:5], v[4:5], s[60:61]                      // 000000006B00: D3B14004 18007904
	v_pk_mul_f32 v[6:7], v[6:7], s[60:61]                      // 000000006B08: D3B14006 18007906
	v_exp_f32_e32 v4, v4                                       // 000000006B10: 7E084104
	v_exp_f32_e32 v5, v5                                       // 000000006B14: 7E0A4105
	v_exp_f32_e32 v6, v6                                       // 000000006B18: 7E0C4106
	v_exp_f32_e32 v7, v7                                       // 000000006B1C: 7E0E4107
	v_add_f32_e64 v4, v4, 1.0                                  // 000000006B20: D1010004 0001E504
	v_add_f32_e64 v5, v5, 1.0                                  // 000000006B28: D1010005 0001E505
	v_add_f32_e64 v6, v6, 1.0                                  // 000000006B30: D1010006 0001E506
	v_add_f32_e64 v7, v7, 1.0                                  // 000000006B38: D1010007 0001E507
	v_rcp_f32_e32 v4, v4                                       // 000000006B40: 7E084504
	v_rcp_f32_e32 v5, v5                                       // 000000006B44: 7E0A4505
	v_rcp_f32_e32 v6, v6                                       // 000000006B48: 7E0C4506
	v_rcp_f32_e32 v7, v7                                       // 000000006B4C: 7E0E4507
	v_mul_f32_e32 v56, v56, v4                                 // 000000006B50: 0A700938
	v_mul_f32_e32 v57, v57, v5                                 // 000000006B54: 0A720B39
	v_mul_f32_e32 v58, v58, v6                                 // 000000006B58: 0A740D3A
	v_mul_f32_e32 v59, v59, v7                                 // 000000006B5C: 0A760F3B
	v_mul_f32_e32 v56, v56, v88                                // 000000006B60: 0A70B138
	v_mul_f32_e32 v57, v57, v89                                // 000000006B64: 0A72B339
	v_mul_f32_e32 v58, v58, v90                                // 000000006B68: 0A74B53A
	v_mul_f32_e32 v59, v59, v91                                // 000000006B6C: 0A76B73B
	v_pk_mul_f32 v[4:5], v[60:61], v[60:61]                    // 000000006B70: D3B14004 1802793C
	v_pk_mul_f32 v[6:7], v[62:63], v[62:63]                    // 000000006B78: D3B14006 18027D3E
	v_pk_fma_f32 v[4:5], v[4:5], s[78:79], v[8:9]              // 000000006B80: D3B04004 1C209D04
	v_pk_fma_f32 v[6:7], v[6:7], s[78:79], v[8:9]              // 000000006B88: D3B04006 1C209D06
	v_pk_mul_f32 v[4:5], v[4:5], v[60:61]                      // 000000006B90: D3B14004 18027904
	v_pk_mul_f32 v[6:7], v[6:7], v[62:63]                      // 000000006B98: D3B14006 18027D06
	v_pk_mul_f32 v[4:5], v[4:5], s[60:61]                      // 000000006BA0: D3B14004 18007904
	v_pk_mul_f32 v[6:7], v[6:7], s[60:61]                      // 000000006BA8: D3B14006 18007906
	v_exp_f32_e32 v4, v4                                       // 000000006BB0: 7E084104
	v_exp_f32_e32 v5, v5                                       // 000000006BB4: 7E0A4105
	v_exp_f32_e32 v6, v6                                       // 000000006BB8: 7E0C4106
	v_exp_f32_e32 v7, v7                                       // 000000006BBC: 7E0E4107
	v_add_f32_e64 v4, v4, 1.0                                  // 000000006BC0: D1010004 0001E504
	v_add_f32_e64 v5, v5, 1.0                                  // 000000006BC8: D1010005 0001E505
	v_add_f32_e64 v6, v6, 1.0                                  // 000000006BD0: D1010006 0001E506
	v_add_f32_e64 v7, v7, 1.0                                  // 000000006BD8: D1010007 0001E507
	v_rcp_f32_e32 v4, v4                                       // 000000006BE0: 7E084504
	v_rcp_f32_e32 v5, v5                                       // 000000006BE4: 7E0A4505
	v_rcp_f32_e32 v6, v6                                       // 000000006BE8: 7E0C4506
	v_rcp_f32_e32 v7, v7                                       // 000000006BEC: 7E0E4507
	v_mul_f32_e32 v60, v60, v4                                 // 000000006BF0: 0A78093C
	v_mul_f32_e32 v61, v61, v5                                 // 000000006BF4: 0A7A0B3D
	v_mul_f32_e32 v62, v62, v6                                 // 000000006BF8: 0A7C0D3E
	v_mul_f32_e32 v63, v63, v7                                 // 000000006BFC: 0A7E0F3F
	v_mul_f32_e32 v60, v60, v92                                // 000000006C00: 0A78B93C
	v_mul_f32_e32 v61, v61, v93                                // 000000006C04: 0A7ABB3D
	v_mul_f32_e32 v62, v62, v94                                // 000000006C08: 0A7CBD3E
	v_mul_f32_e32 v63, v63, v95                                // 000000006C0C: 0A7EBF3F
	v_pk_mul_f32 v[4:5], v[64:65], v[64:65]                    // 000000006C10: D3B14004 18028140
	v_pk_mul_f32 v[6:7], v[66:67], v[66:67]                    // 000000006C18: D3B14006 18028542
	v_pk_fma_f32 v[4:5], v[4:5], s[78:79], v[8:9]              // 000000006C20: D3B04004 1C209D04
	v_pk_fma_f32 v[6:7], v[6:7], s[78:79], v[8:9]              // 000000006C28: D3B04006 1C209D06
	v_pk_mul_f32 v[4:5], v[4:5], v[64:65]                      // 000000006C30: D3B14004 18028104
	v_pk_mul_f32 v[6:7], v[6:7], v[66:67]                      // 000000006C38: D3B14006 18028506
	v_pk_mul_f32 v[4:5], v[4:5], s[60:61]                      // 000000006C40: D3B14004 18007904
	v_pk_mul_f32 v[6:7], v[6:7], s[60:61]                      // 000000006C48: D3B14006 18007906
	v_exp_f32_e32 v4, v4                                       // 000000006C50: 7E084104
	v_exp_f32_e32 v5, v5                                       // 000000006C54: 7E0A4105
	v_exp_f32_e32 v6, v6                                       // 000000006C58: 7E0C4106
	v_exp_f32_e32 v7, v7                                       // 000000006C5C: 7E0E4107
	v_add_f32_e64 v4, v4, 1.0                                  // 000000006C60: D1010004 0001E504
	v_add_f32_e64 v5, v5, 1.0                                  // 000000006C68: D1010005 0001E505
	v_add_f32_e64 v6, v6, 1.0                                  // 000000006C70: D1010006 0001E506
	v_add_f32_e64 v7, v7, 1.0                                  // 000000006C78: D1010007 0001E507
	v_rcp_f32_e32 v4, v4                                       // 000000006C80: 7E084504
	v_rcp_f32_e32 v5, v5                                       // 000000006C84: 7E0A4505
	v_rcp_f32_e32 v6, v6                                       // 000000006C88: 7E0C4506
	v_rcp_f32_e32 v7, v7                                       // 000000006C8C: 7E0E4507
	v_mul_f32_e32 v64, v64, v4                                 // 000000006C90: 0A800940
	v_mul_f32_e32 v65, v65, v5                                 // 000000006C94: 0A820B41
	v_mul_f32_e32 v66, v66, v6                                 // 000000006C98: 0A840D42
	v_mul_f32_e32 v67, v67, v7                                 // 000000006C9C: 0A860F43
	v_mul_f32_e32 v64, v64, v96                                // 000000006CA0: 0A80C140
	v_mul_f32_e32 v65, v65, v97                                // 000000006CA4: 0A82C341
	v_mul_f32_e32 v66, v66, v98                                // 000000006CA8: 0A84C542
	v_mul_f32_e32 v67, v67, v99                                // 000000006CAC: 0A86C743
	v_pk_mul_f32 v[4:5], v[68:69], v[68:69]                    // 000000006CB0: D3B14004 18028944
	v_pk_mul_f32 v[6:7], v[70:71], v[70:71]                    // 000000006CB8: D3B14006 18028D46
	v_pk_fma_f32 v[4:5], v[4:5], s[78:79], v[8:9]              // 000000006CC0: D3B04004 1C209D04
	v_pk_fma_f32 v[6:7], v[6:7], s[78:79], v[8:9]              // 000000006CC8: D3B04006 1C209D06
	v_pk_mul_f32 v[4:5], v[4:5], v[68:69]                      // 000000006CD0: D3B14004 18028904
	v_pk_mul_f32 v[6:7], v[6:7], v[70:71]                      // 000000006CD8: D3B14006 18028D06
	v_pk_mul_f32 v[4:5], v[4:5], s[60:61]                      // 000000006CE0: D3B14004 18007904
	v_pk_mul_f32 v[6:7], v[6:7], s[60:61]                      // 000000006CE8: D3B14006 18007906
	v_exp_f32_e32 v4, v4                                       // 000000006CF0: 7E084104
	v_exp_f32_e32 v5, v5                                       // 000000006CF4: 7E0A4105
	v_exp_f32_e32 v6, v6                                       // 000000006CF8: 7E0C4106
	v_exp_f32_e32 v7, v7                                       // 000000006CFC: 7E0E4107
	v_add_f32_e64 v4, v4, 1.0                                  // 000000006D00: D1010004 0001E504
	v_add_f32_e64 v5, v5, 1.0                                  // 000000006D08: D1010005 0001E505
	v_add_f32_e64 v6, v6, 1.0                                  // 000000006D10: D1010006 0001E506
	v_add_f32_e64 v7, v7, 1.0                                  // 000000006D18: D1010007 0001E507
	v_rcp_f32_e32 v4, v4                                       // 000000006D20: 7E084504
	v_rcp_f32_e32 v5, v5                                       // 000000006D24: 7E0A4505
	v_rcp_f32_e32 v6, v6                                       // 000000006D28: 7E0C4506
	v_rcp_f32_e32 v7, v7                                       // 000000006D2C: 7E0E4507
	v_mul_f32_e32 v68, v68, v4                                 // 000000006D30: 0A880944
	v_mul_f32_e32 v69, v69, v5                                 // 000000006D34: 0A8A0B45
	v_mul_f32_e32 v70, v70, v6                                 // 000000006D38: 0A8C0D46
	v_mul_f32_e32 v71, v71, v7                                 // 000000006D3C: 0A8E0F47
	v_mul_f32_e32 v68, v68, v100                               // 000000006D40: 0A88C944
	v_mul_f32_e32 v69, v69, v101                               // 000000006D44: 0A8ACB45
	v_mul_f32_e32 v70, v70, v102                               // 000000006D48: 0A8CCD46
	v_mul_f32_e32 v71, v71, v103                               // 000000006D4C: 0A8ECF47
	v_pk_mul_f32 v[4:5], v[72:73], v[72:73]                    // 000000006D50: D3B14004 18029148
	v_pk_mul_f32 v[6:7], v[74:75], v[74:75]                    // 000000006D58: D3B14006 1802954A
	v_pk_fma_f32 v[4:5], v[4:5], s[78:79], v[8:9]              // 000000006D60: D3B04004 1C209D04
	v_pk_fma_f32 v[6:7], v[6:7], s[78:79], v[8:9]              // 000000006D68: D3B04006 1C209D06
	v_pk_mul_f32 v[4:5], v[4:5], v[72:73]                      // 000000006D70: D3B14004 18029104
	v_pk_mul_f32 v[6:7], v[6:7], v[74:75]                      // 000000006D78: D3B14006 18029506
	v_pk_mul_f32 v[4:5], v[4:5], s[60:61]                      // 000000006D80: D3B14004 18007904
	v_pk_mul_f32 v[6:7], v[6:7], s[60:61]                      // 000000006D88: D3B14006 18007906
	v_exp_f32_e32 v4, v4                                       // 000000006D90: 7E084104
	v_exp_f32_e32 v5, v5                                       // 000000006D94: 7E0A4105
	v_exp_f32_e32 v6, v6                                       // 000000006D98: 7E0C4106
	v_exp_f32_e32 v7, v7                                       // 000000006D9C: 7E0E4107
	v_add_f32_e64 v4, v4, 1.0                                  // 000000006DA0: D1010004 0001E504
	v_add_f32_e64 v5, v5, 1.0                                  // 000000006DA8: D1010005 0001E505
	v_add_f32_e64 v6, v6, 1.0                                  // 000000006DB0: D1010006 0001E506
	v_add_f32_e64 v7, v7, 1.0                                  // 000000006DB8: D1010007 0001E507
	v_rcp_f32_e32 v4, v4                                       // 000000006DC0: 7E084504
	v_rcp_f32_e32 v5, v5                                       // 000000006DC4: 7E0A4505
	v_rcp_f32_e32 v6, v6                                       // 000000006DC8: 7E0C4506
	v_rcp_f32_e32 v7, v7                                       // 000000006DCC: 7E0E4507
	v_mul_f32_e32 v72, v72, v4                                 // 000000006DD0: 0A900948
	v_mul_f32_e32 v73, v73, v5                                 // 000000006DD4: 0A920B49
	v_mul_f32_e32 v74, v74, v6                                 // 000000006DD8: 0A940D4A
	v_mul_f32_e32 v75, v75, v7                                 // 000000006DDC: 0A960F4B
	v_mul_f32_e32 v72, v72, v104                               // 000000006DE0: 0A90D148
	v_mul_f32_e32 v73, v73, v105                               // 000000006DE4: 0A92D349
	v_mul_f32_e32 v74, v74, v106                               // 000000006DE8: 0A94D54A
	v_mul_f32_e32 v75, v75, v107                               // 000000006DEC: 0A96D74B
	v_pk_mul_f32 v[4:5], v[76:77], v[76:77]                    // 000000006DF0: D3B14004 1802994C
	v_pk_mul_f32 v[6:7], v[78:79], v[78:79]                    // 000000006DF8: D3B14006 18029D4E
	v_pk_fma_f32 v[4:5], v[4:5], s[78:79], v[8:9]              // 000000006E00: D3B04004 1C209D04
	v_pk_fma_f32 v[6:7], v[6:7], s[78:79], v[8:9]              // 000000006E08: D3B04006 1C209D06
	v_pk_mul_f32 v[4:5], v[4:5], v[76:77]                      // 000000006E10: D3B14004 18029904
	v_pk_mul_f32 v[6:7], v[6:7], v[78:79]                      // 000000006E18: D3B14006 18029D06
	v_pk_mul_f32 v[4:5], v[4:5], s[60:61]                      // 000000006E20: D3B14004 18007904
	v_pk_mul_f32 v[6:7], v[6:7], s[60:61]                      // 000000006E28: D3B14006 18007906
	v_exp_f32_e32 v4, v4                                       // 000000006E30: 7E084104
	v_exp_f32_e32 v5, v5                                       // 000000006E34: 7E0A4105
	v_exp_f32_e32 v6, v6                                       // 000000006E38: 7E0C4106
	v_exp_f32_e32 v7, v7                                       // 000000006E3C: 7E0E4107
	v_add_f32_e64 v4, v4, 1.0                                  // 000000006E40: D1010004 0001E504
	v_add_f32_e64 v5, v5, 1.0                                  // 000000006E48: D1010005 0001E505
	v_add_f32_e64 v6, v6, 1.0                                  // 000000006E50: D1010006 0001E506
	v_add_f32_e64 v7, v7, 1.0                                  // 000000006E58: D1010007 0001E507
	v_rcp_f32_e32 v4, v4                                       // 000000006E60: 7E084504
	v_rcp_f32_e32 v5, v5                                       // 000000006E64: 7E0A4505
	v_rcp_f32_e32 v6, v6                                       // 000000006E68: 7E0C4506
	v_rcp_f32_e32 v7, v7                                       // 000000006E6C: 7E0E4507
	v_mul_f32_e32 v76, v76, v4                                 // 000000006E70: 0A98094C
	v_mul_f32_e32 v77, v77, v5                                 // 000000006E74: 0A9A0B4D
	v_mul_f32_e32 v78, v78, v6                                 // 000000006E78: 0A9C0D4E
	v_mul_f32_e32 v79, v79, v7                                 // 000000006E7C: 0A9E0F4F
	v_mul_f32_e32 v76, v76, v108                               // 000000006E80: 0A98D94C
	v_mul_f32_e32 v77, v77, v109                               // 000000006E84: 0A9ADB4D
	v_mul_f32_e32 v78, v78, v110                               // 000000006E88: 0A9CDD4E
	v_mul_f32_e32 v79, v79, v111                               // 000000006E8C: 0A9EDF4F
	v_pk_mul_f32 v[4:5], v[80:81], v[80:81]                    // 000000006E90: D3B14004 1802A150
	v_pk_mul_f32 v[6:7], v[82:83], v[82:83]                    // 000000006E98: D3B14006 1802A552
	v_pk_fma_f32 v[4:5], v[4:5], s[78:79], v[8:9]              // 000000006EA0: D3B04004 1C209D04
	v_pk_fma_f32 v[6:7], v[6:7], s[78:79], v[8:9]              // 000000006EA8: D3B04006 1C209D06
	v_pk_mul_f32 v[4:5], v[4:5], v[80:81]                      // 000000006EB0: D3B14004 1802A104
	v_pk_mul_f32 v[6:7], v[6:7], v[82:83]                      // 000000006EB8: D3B14006 1802A506
	v_pk_mul_f32 v[4:5], v[4:5], s[60:61]                      // 000000006EC0: D3B14004 18007904
	v_pk_mul_f32 v[6:7], v[6:7], s[60:61]                      // 000000006EC8: D3B14006 18007906
	v_exp_f32_e32 v4, v4                                       // 000000006ED0: 7E084104
	v_exp_f32_e32 v5, v5                                       // 000000006ED4: 7E0A4105
	v_exp_f32_e32 v6, v6                                       // 000000006ED8: 7E0C4106
	v_exp_f32_e32 v7, v7                                       // 000000006EDC: 7E0E4107
	v_add_f32_e64 v4, v4, 1.0                                  // 000000006EE0: D1010004 0001E504
	v_add_f32_e64 v5, v5, 1.0                                  // 000000006EE8: D1010005 0001E505
	v_add_f32_e64 v6, v6, 1.0                                  // 000000006EF0: D1010006 0001E506
	v_add_f32_e64 v7, v7, 1.0                                  // 000000006EF8: D1010007 0001E507
	v_rcp_f32_e32 v4, v4                                       // 000000006F00: 7E084504
	v_rcp_f32_e32 v5, v5                                       // 000000006F04: 7E0A4505
	v_rcp_f32_e32 v6, v6                                       // 000000006F08: 7E0C4506
	v_rcp_f32_e32 v7, v7                                       // 000000006F0C: 7E0E4507
	v_mul_f32_e32 v80, v80, v4                                 // 000000006F10: 0AA00950
	v_mul_f32_e32 v81, v81, v5                                 // 000000006F14: 0AA20B51
	v_mul_f32_e32 v82, v82, v6                                 // 000000006F18: 0AA40D52
	v_mul_f32_e32 v83, v83, v7                                 // 000000006F1C: 0AA60F53
	v_mul_f32_e32 v80, v80, v112                               // 000000006F20: 0AA0E150
	v_mul_f32_e32 v81, v81, v113                               // 000000006F24: 0AA2E351
	v_mul_f32_e32 v82, v82, v114                               // 000000006F28: 0AA4E552
	v_mul_f32_e32 v83, v83, v115                               // 000000006F2C: 0AA6E753
	v_pk_mul_f32 v[4:5], v[84:85], v[84:85]                    // 000000006F30: D3B14004 1802A954
	v_pk_mul_f32 v[6:7], v[86:87], v[86:87]                    // 000000006F38: D3B14006 1802AD56
	v_pk_fma_f32 v[4:5], v[4:5], s[78:79], v[8:9]              // 000000006F40: D3B04004 1C209D04
	v_pk_fma_f32 v[6:7], v[6:7], s[78:79], v[8:9]              // 000000006F48: D3B04006 1C209D06
	v_pk_mul_f32 v[4:5], v[4:5], v[84:85]                      // 000000006F50: D3B14004 1802A904
	v_pk_mul_f32 v[6:7], v[6:7], v[86:87]                      // 000000006F58: D3B14006 1802AD06
	v_pk_mul_f32 v[4:5], v[4:5], s[60:61]                      // 000000006F60: D3B14004 18007904
	v_pk_mul_f32 v[6:7], v[6:7], s[60:61]                      // 000000006F68: D3B14006 18007906
	v_exp_f32_e32 v4, v4                                       // 000000006F70: 7E084104
	v_exp_f32_e32 v5, v5                                       // 000000006F74: 7E0A4105
	v_exp_f32_e32 v6, v6                                       // 000000006F78: 7E0C4106
	v_exp_f32_e32 v7, v7                                       // 000000006F7C: 7E0E4107
	v_add_f32_e64 v4, v4, 1.0                                  // 000000006F80: D1010004 0001E504
	v_add_f32_e64 v5, v5, 1.0                                  // 000000006F88: D1010005 0001E505
	v_add_f32_e64 v6, v6, 1.0                                  // 000000006F90: D1010006 0001E506
	v_add_f32_e64 v7, v7, 1.0                                  // 000000006F98: D1010007 0001E507
	v_rcp_f32_e32 v4, v4                                       // 000000006FA0: 7E084504
	v_rcp_f32_e32 v5, v5                                       // 000000006FA4: 7E0A4505
	v_rcp_f32_e32 v6, v6                                       // 000000006FA8: 7E0C4506
	v_rcp_f32_e32 v7, v7                                       // 000000006FAC: 7E0E4507
	v_mul_f32_e32 v84, v84, v4                                 // 000000006FB0: 0AA80954
	v_mul_f32_e32 v85, v85, v5                                 // 000000006FB4: 0AAA0B55
	v_mul_f32_e32 v86, v86, v6                                 // 000000006FB8: 0AAC0D56
	v_mul_f32_e32 v87, v87, v7                                 // 000000006FBC: 0AAE0F57
	v_mul_f32_e32 v84, v84, v116                               // 000000006FC0: 0AA8E954
	v_mul_f32_e32 v85, v85, v117                               // 000000006FC4: 0AAAEB55
	v_mul_f32_e32 v86, v86, v118                               // 000000006FC8: 0AACED56
	v_mul_f32_e32 v87, v87, v119                               // 000000006FCC: 0AAEEF57
	s_branch label_1278                                        // 000000006FD0: BF820100

0000000000006fd4 <label_1178>:
	v_mul_f32_e64 v4, -v56, s6                                 // 000000006FD4: D1050004 20000D38
	v_mul_f32_e64 v5, -v57, s6                                 // 000000006FDC: D1050005 20000D39
	v_mul_f32_e64 v6, -v58, s6                                 // 000000006FE4: D1050006 20000D3A
	v_mul_f32_e64 v7, -v59, s6                                 // 000000006FEC: D1050007 20000D3B
	v_exp_f32_e32 v4, v4                                       // 000000006FF4: 7E084104
	v_exp_f32_e32 v5, v5                                       // 000000006FF8: 7E0A4105
	v_exp_f32_e32 v6, v6                                       // 000000006FFC: 7E0C4106
	v_exp_f32_e32 v7, v7                                       // 000000007000: 7E0E4107
	v_add_f32_e64 v4, v4, 1.0                                  // 000000007004: D1010004 0001E504
	v_add_f32_e64 v5, v5, 1.0                                  // 00000000700C: D1010005 0001E505
	v_add_f32_e64 v6, v6, 1.0                                  // 000000007014: D1010006 0001E506
	v_add_f32_e64 v7, v7, 1.0                                  // 00000000701C: D1010007 0001E507
	v_rcp_f32_e32 v4, v4                                       // 000000007024: 7E084504
	v_rcp_f32_e32 v5, v5                                       // 000000007028: 7E0A4505
	v_rcp_f32_e32 v6, v6                                       // 00000000702C: 7E0C4506
	v_rcp_f32_e32 v7, v7                                       // 000000007030: 7E0E4507
	v_mul_f32_e32 v56, v56, v4                                 // 000000007034: 0A700938
	v_mul_f32_e32 v57, v57, v5                                 // 000000007038: 0A720B39
	v_mul_f32_e32 v58, v58, v6                                 // 00000000703C: 0A740D3A
	v_mul_f32_e32 v59, v59, v7                                 // 000000007040: 0A760F3B
	v_mul_f32_e32 v56, v56, v88                                // 000000007044: 0A70B138
	v_mul_f32_e32 v57, v57, v89                                // 000000007048: 0A72B339
	v_mul_f32_e32 v58, v58, v90                                // 00000000704C: 0A74B53A
	v_mul_f32_e32 v59, v59, v91                                // 000000007050: 0A76B73B
	v_mul_f32_e64 v4, -v60, s6                                 // 000000007054: D1050004 20000D3C
	v_mul_f32_e64 v5, -v61, s6                                 // 00000000705C: D1050005 20000D3D
	v_mul_f32_e64 v6, -v62, s6                                 // 000000007064: D1050006 20000D3E
	v_mul_f32_e64 v7, -v63, s6                                 // 00000000706C: D1050007 20000D3F
	v_exp_f32_e32 v4, v4                                       // 000000007074: 7E084104
	v_exp_f32_e32 v5, v5                                       // 000000007078: 7E0A4105
	v_exp_f32_e32 v6, v6                                       // 00000000707C: 7E0C4106
	v_exp_f32_e32 v7, v7                                       // 000000007080: 7E0E4107
	v_add_f32_e64 v4, v4, 1.0                                  // 000000007084: D1010004 0001E504
	v_add_f32_e64 v5, v5, 1.0                                  // 00000000708C: D1010005 0001E505
	v_add_f32_e64 v6, v6, 1.0                                  // 000000007094: D1010006 0001E506
	v_add_f32_e64 v7, v7, 1.0                                  // 00000000709C: D1010007 0001E507
	v_rcp_f32_e32 v4, v4                                       // 0000000070A4: 7E084504
	v_rcp_f32_e32 v5, v5                                       // 0000000070A8: 7E0A4505
	v_rcp_f32_e32 v6, v6                                       // 0000000070AC: 7E0C4506
	v_rcp_f32_e32 v7, v7                                       // 0000000070B0: 7E0E4507
	v_mul_f32_e32 v60, v60, v4                                 // 0000000070B4: 0A78093C
	v_mul_f32_e32 v61, v61, v5                                 // 0000000070B8: 0A7A0B3D
	v_mul_f32_e32 v62, v62, v6                                 // 0000000070BC: 0A7C0D3E
	v_mul_f32_e32 v63, v63, v7                                 // 0000000070C0: 0A7E0F3F
	v_mul_f32_e32 v60, v60, v92                                // 0000000070C4: 0A78B93C
	v_mul_f32_e32 v61, v61, v93                                // 0000000070C8: 0A7ABB3D
	v_mul_f32_e32 v62, v62, v94                                // 0000000070CC: 0A7CBD3E
	v_mul_f32_e32 v63, v63, v95                                // 0000000070D0: 0A7EBF3F
	v_mul_f32_e64 v4, -v64, s6                                 // 0000000070D4: D1050004 20000D40
	v_mul_f32_e64 v5, -v65, s6                                 // 0000000070DC: D1050005 20000D41
	v_mul_f32_e64 v6, -v66, s6                                 // 0000000070E4: D1050006 20000D42
	v_mul_f32_e64 v7, -v67, s6                                 // 0000000070EC: D1050007 20000D43
	v_exp_f32_e32 v4, v4                                       // 0000000070F4: 7E084104
	v_exp_f32_e32 v5, v5                                       // 0000000070F8: 7E0A4105
	v_exp_f32_e32 v6, v6                                       // 0000000070FC: 7E0C4106
	v_exp_f32_e32 v7, v7                                       // 000000007100: 7E0E4107
	v_add_f32_e64 v4, v4, 1.0                                  // 000000007104: D1010004 0001E504
	v_add_f32_e64 v5, v5, 1.0                                  // 00000000710C: D1010005 0001E505
	v_add_f32_e64 v6, v6, 1.0                                  // 000000007114: D1010006 0001E506
	v_add_f32_e64 v7, v7, 1.0                                  // 00000000711C: D1010007 0001E507
	v_rcp_f32_e32 v4, v4                                       // 000000007124: 7E084504
	v_rcp_f32_e32 v5, v5                                       // 000000007128: 7E0A4505
	v_rcp_f32_e32 v6, v6                                       // 00000000712C: 7E0C4506
	v_rcp_f32_e32 v7, v7                                       // 000000007130: 7E0E4507
	v_mul_f32_e32 v64, v64, v4                                 // 000000007134: 0A800940
	v_mul_f32_e32 v65, v65, v5                                 // 000000007138: 0A820B41
	v_mul_f32_e32 v66, v66, v6                                 // 00000000713C: 0A840D42
	v_mul_f32_e32 v67, v67, v7                                 // 000000007140: 0A860F43
	v_mul_f32_e32 v64, v64, v96                                // 000000007144: 0A80C140
	v_mul_f32_e32 v65, v65, v97                                // 000000007148: 0A82C341
	v_mul_f32_e32 v66, v66, v98                                // 00000000714C: 0A84C542
	v_mul_f32_e32 v67, v67, v99                                // 000000007150: 0A86C743
	v_mul_f32_e64 v4, -v68, s6                                 // 000000007154: D1050004 20000D44
	v_mul_f32_e64 v5, -v69, s6                                 // 00000000715C: D1050005 20000D45
	v_mul_f32_e64 v6, -v70, s6                                 // 000000007164: D1050006 20000D46
	v_mul_f32_e64 v7, -v71, s6                                 // 00000000716C: D1050007 20000D47
	v_exp_f32_e32 v4, v4                                       // 000000007174: 7E084104
	v_exp_f32_e32 v5, v5                                       // 000000007178: 7E0A4105
	v_exp_f32_e32 v6, v6                                       // 00000000717C: 7E0C4106
	v_exp_f32_e32 v7, v7                                       // 000000007180: 7E0E4107
	v_add_f32_e64 v4, v4, 1.0                                  // 000000007184: D1010004 0001E504
	v_add_f32_e64 v5, v5, 1.0                                  // 00000000718C: D1010005 0001E505
	v_add_f32_e64 v6, v6, 1.0                                  // 000000007194: D1010006 0001E506
	v_add_f32_e64 v7, v7, 1.0                                  // 00000000719C: D1010007 0001E507
	v_rcp_f32_e32 v4, v4                                       // 0000000071A4: 7E084504
	v_rcp_f32_e32 v5, v5                                       // 0000000071A8: 7E0A4505
	v_rcp_f32_e32 v6, v6                                       // 0000000071AC: 7E0C4506
	v_rcp_f32_e32 v7, v7                                       // 0000000071B0: 7E0E4507
	v_mul_f32_e32 v68, v68, v4                                 // 0000000071B4: 0A880944
	v_mul_f32_e32 v69, v69, v5                                 // 0000000071B8: 0A8A0B45
	v_mul_f32_e32 v70, v70, v6                                 // 0000000071BC: 0A8C0D46
	v_mul_f32_e32 v71, v71, v7                                 // 0000000071C0: 0A8E0F47
	v_mul_f32_e32 v68, v68, v100                               // 0000000071C4: 0A88C944
	v_mul_f32_e32 v69, v69, v101                               // 0000000071C8: 0A8ACB45
	v_mul_f32_e32 v70, v70, v102                               // 0000000071CC: 0A8CCD46
	v_mul_f32_e32 v71, v71, v103                               // 0000000071D0: 0A8ECF47
	v_mul_f32_e64 v4, -v72, s6                                 // 0000000071D4: D1050004 20000D48
	v_mul_f32_e64 v5, -v73, s6                                 // 0000000071DC: D1050005 20000D49
	v_mul_f32_e64 v6, -v74, s6                                 // 0000000071E4: D1050006 20000D4A
	v_mul_f32_e64 v7, -v75, s6                                 // 0000000071EC: D1050007 20000D4B
	v_exp_f32_e32 v4, v4                                       // 0000000071F4: 7E084104
	v_exp_f32_e32 v5, v5                                       // 0000000071F8: 7E0A4105
	v_exp_f32_e32 v6, v6                                       // 0000000071FC: 7E0C4106
	v_exp_f32_e32 v7, v7                                       // 000000007200: 7E0E4107
	v_add_f32_e64 v4, v4, 1.0                                  // 000000007204: D1010004 0001E504
	v_add_f32_e64 v5, v5, 1.0                                  // 00000000720C: D1010005 0001E505
	v_add_f32_e64 v6, v6, 1.0                                  // 000000007214: D1010006 0001E506
	v_add_f32_e64 v7, v7, 1.0                                  // 00000000721C: D1010007 0001E507
	v_rcp_f32_e32 v4, v4                                       // 000000007224: 7E084504
	v_rcp_f32_e32 v5, v5                                       // 000000007228: 7E0A4505
	v_rcp_f32_e32 v6, v6                                       // 00000000722C: 7E0C4506
	v_rcp_f32_e32 v7, v7                                       // 000000007230: 7E0E4507
	v_mul_f32_e32 v72, v72, v4                                 // 000000007234: 0A900948
	v_mul_f32_e32 v73, v73, v5                                 // 000000007238: 0A920B49
	v_mul_f32_e32 v74, v74, v6                                 // 00000000723C: 0A940D4A
	v_mul_f32_e32 v75, v75, v7                                 // 000000007240: 0A960F4B
	v_mul_f32_e32 v72, v72, v104                               // 000000007244: 0A90D148
	v_mul_f32_e32 v73, v73, v105                               // 000000007248: 0A92D349
	v_mul_f32_e32 v74, v74, v106                               // 00000000724C: 0A94D54A
	v_mul_f32_e32 v75, v75, v107                               // 000000007250: 0A96D74B
	v_mul_f32_e64 v4, -v76, s6                                 // 000000007254: D1050004 20000D4C
	v_mul_f32_e64 v5, -v77, s6                                 // 00000000725C: D1050005 20000D4D
	v_mul_f32_e64 v6, -v78, s6                                 // 000000007264: D1050006 20000D4E
	v_mul_f32_e64 v7, -v79, s6                                 // 00000000726C: D1050007 20000D4F
	v_exp_f32_e32 v4, v4                                       // 000000007274: 7E084104
	v_exp_f32_e32 v5, v5                                       // 000000007278: 7E0A4105
	v_exp_f32_e32 v6, v6                                       // 00000000727C: 7E0C4106
	v_exp_f32_e32 v7, v7                                       // 000000007280: 7E0E4107
	v_add_f32_e64 v4, v4, 1.0                                  // 000000007284: D1010004 0001E504
	v_add_f32_e64 v5, v5, 1.0                                  // 00000000728C: D1010005 0001E505
	v_add_f32_e64 v6, v6, 1.0                                  // 000000007294: D1010006 0001E506
	v_add_f32_e64 v7, v7, 1.0                                  // 00000000729C: D1010007 0001E507
	v_rcp_f32_e32 v4, v4                                       // 0000000072A4: 7E084504
	v_rcp_f32_e32 v5, v5                                       // 0000000072A8: 7E0A4505
	v_rcp_f32_e32 v6, v6                                       // 0000000072AC: 7E0C4506
	v_rcp_f32_e32 v7, v7                                       // 0000000072B0: 7E0E4507
	v_mul_f32_e32 v76, v76, v4                                 // 0000000072B4: 0A98094C
	v_mul_f32_e32 v77, v77, v5                                 // 0000000072B8: 0A9A0B4D
	v_mul_f32_e32 v78, v78, v6                                 // 0000000072BC: 0A9C0D4E
	v_mul_f32_e32 v79, v79, v7                                 // 0000000072C0: 0A9E0F4F
	v_mul_f32_e32 v76, v76, v108                               // 0000000072C4: 0A98D94C
	v_mul_f32_e32 v77, v77, v109                               // 0000000072C8: 0A9ADB4D
	v_mul_f32_e32 v78, v78, v110                               // 0000000072CC: 0A9CDD4E
	v_mul_f32_e32 v79, v79, v111                               // 0000000072D0: 0A9EDF4F
	v_mul_f32_e64 v4, -v80, s6                                 // 0000000072D4: D1050004 20000D50
	v_mul_f32_e64 v5, -v81, s6                                 // 0000000072DC: D1050005 20000D51
	v_mul_f32_e64 v6, -v82, s6                                 // 0000000072E4: D1050006 20000D52
	v_mul_f32_e64 v7, -v83, s6                                 // 0000000072EC: D1050007 20000D53
	v_exp_f32_e32 v4, v4                                       // 0000000072F4: 7E084104
	v_exp_f32_e32 v5, v5                                       // 0000000072F8: 7E0A4105
	v_exp_f32_e32 v6, v6                                       // 0000000072FC: 7E0C4106
	v_exp_f32_e32 v7, v7                                       // 000000007300: 7E0E4107
	v_add_f32_e64 v4, v4, 1.0                                  // 000000007304: D1010004 0001E504
	v_add_f32_e64 v5, v5, 1.0                                  // 00000000730C: D1010005 0001E505
	v_add_f32_e64 v6, v6, 1.0                                  // 000000007314: D1010006 0001E506
	v_add_f32_e64 v7, v7, 1.0                                  // 00000000731C: D1010007 0001E507
	v_rcp_f32_e32 v4, v4                                       // 000000007324: 7E084504
	v_rcp_f32_e32 v5, v5                                       // 000000007328: 7E0A4505
	v_rcp_f32_e32 v6, v6                                       // 00000000732C: 7E0C4506
	v_rcp_f32_e32 v7, v7                                       // 000000007330: 7E0E4507
	v_mul_f32_e32 v80, v80, v4                                 // 000000007334: 0AA00950
	v_mul_f32_e32 v81, v81, v5                                 // 000000007338: 0AA20B51
	v_mul_f32_e32 v82, v82, v6                                 // 00000000733C: 0AA40D52
	v_mul_f32_e32 v83, v83, v7                                 // 000000007340: 0AA60F53
	v_mul_f32_e32 v80, v80, v112                               // 000000007344: 0AA0E150
	v_mul_f32_e32 v81, v81, v113                               // 000000007348: 0AA2E351
	v_mul_f32_e32 v82, v82, v114                               // 00000000734C: 0AA4E552
	v_mul_f32_e32 v83, v83, v115                               // 000000007350: 0AA6E753
	v_mul_f32_e64 v4, -v84, s6                                 // 000000007354: D1050004 20000D54
	v_mul_f32_e64 v5, -v85, s6                                 // 00000000735C: D1050005 20000D55
	v_mul_f32_e64 v6, -v86, s6                                 // 000000007364: D1050006 20000D56
	v_mul_f32_e64 v7, -v87, s6                                 // 00000000736C: D1050007 20000D57
	v_exp_f32_e32 v4, v4                                       // 000000007374: 7E084104
	v_exp_f32_e32 v5, v5                                       // 000000007378: 7E0A4105
	v_exp_f32_e32 v6, v6                                       // 00000000737C: 7E0C4106
	v_exp_f32_e32 v7, v7                                       // 000000007380: 7E0E4107
	v_add_f32_e64 v4, v4, 1.0                                  // 000000007384: D1010004 0001E504
	v_add_f32_e64 v5, v5, 1.0                                  // 00000000738C: D1010005 0001E505
	v_add_f32_e64 v6, v6, 1.0                                  // 000000007394: D1010006 0001E506
	v_add_f32_e64 v7, v7, 1.0                                  // 00000000739C: D1010007 0001E507
	v_rcp_f32_e32 v4, v4                                       // 0000000073A4: 7E084504
	v_rcp_f32_e32 v5, v5                                       // 0000000073A8: 7E0A4505
	v_rcp_f32_e32 v6, v6                                       // 0000000073AC: 7E0C4506
	v_rcp_f32_e32 v7, v7                                       // 0000000073B0: 7E0E4507
	v_mul_f32_e32 v84, v84, v4                                 // 0000000073B4: 0AA80954
	v_mul_f32_e32 v85, v85, v5                                 // 0000000073B8: 0AAA0B55
	v_mul_f32_e32 v86, v86, v6                                 // 0000000073BC: 0AAC0D56
	v_mul_f32_e32 v87, v87, v7                                 // 0000000073C0: 0AAE0F57
	v_mul_f32_e32 v84, v84, v116                               // 0000000073C4: 0AA8E954
	v_mul_f32_e32 v85, v85, v117                               // 0000000073C8: 0AAAEB55
	v_mul_f32_e32 v86, v86, v118                               // 0000000073CC: 0AACED56
	v_mul_f32_e32 v87, v87, v119                               // 0000000073D0: 0AAEEF57

00000000000073d4 <label_1278>:
	v_cmp_u_f32_e64 s[46:47], v56, v56                         // 0000000073D4: D048002E 00027138
	v_add3_u32 v16, v56, v19, 1                                // 0000000073DC: D1FF0010 02062738
	v_cndmask_b32_e64 v4, v16, v18, s[46:47]                   // 0000000073E4: D1000004 00BA2510
	v_cmp_u_f32_e64 s[46:47], v57, v57                         // 0000000073EC: D048002E 00027339
	v_add3_u32 v16, v57, v19, 1                                // 0000000073F4: D1FF0010 02062739
	v_cndmask_b32_e64 v5, v16, v18, s[46:47]                   // 0000000073FC: D1000005 00BA2510
	v_perm_b32 v56, v5, v4, s52                                // 000000007404: D1ED0038 00D20905
	v_cmp_u_f32_e64 s[46:47], v58, v58                         // 00000000740C: D048002E 0002753A
	v_add3_u32 v16, v58, v19, 1                                // 000000007414: D1FF0010 0206273A
	v_cndmask_b32_e64 v4, v16, v18, s[46:47]                   // 00000000741C: D1000004 00BA2510
	v_cmp_u_f32_e64 s[46:47], v59, v59                         // 000000007424: D048002E 0002773B
	v_add3_u32 v16, v59, v19, 1                                // 00000000742C: D1FF0010 0206273B
	v_cndmask_b32_e64 v5, v16, v18, s[46:47]                   // 000000007434: D1000005 00BA2510
	v_perm_b32 v57, v5, v4, s52                                // 00000000743C: D1ED0039 00D20905
	v_cmp_u_f32_e64 s[46:47], v60, v60                         // 000000007444: D048002E 0002793C
	v_add3_u32 v16, v60, v19, 1                                // 00000000744C: D1FF0010 0206273C
	v_cndmask_b32_e64 v4, v16, v18, s[46:47]                   // 000000007454: D1000004 00BA2510
	v_cmp_u_f32_e64 s[46:47], v61, v61                         // 00000000745C: D048002E 00027B3D
	v_add3_u32 v16, v61, v19, 1                                // 000000007464: D1FF0010 0206273D
	v_cndmask_b32_e64 v5, v16, v18, s[46:47]                   // 00000000746C: D1000005 00BA2510
	v_perm_b32 v58, v5, v4, s52                                // 000000007474: D1ED003A 00D20905
	v_cmp_u_f32_e64 s[46:47], v62, v62                         // 00000000747C: D048002E 00027D3E
	v_add3_u32 v16, v62, v19, 1                                // 000000007484: D1FF0010 0206273E
	v_cndmask_b32_e64 v4, v16, v18, s[46:47]                   // 00000000748C: D1000004 00BA2510
	v_cmp_u_f32_e64 s[46:47], v63, v63                         // 000000007494: D048002E 00027F3F
	v_add3_u32 v16, v63, v19, 1                                // 00000000749C: D1FF0010 0206273F
	v_cndmask_b32_e64 v5, v16, v18, s[46:47]                   // 0000000074A4: D1000005 00BA2510
	v_perm_b32 v59, v5, v4, s52                                // 0000000074AC: D1ED003B 00D20905
	v_cmp_u_f32_e64 s[46:47], v64, v64                         // 0000000074B4: D048002E 00028140
	v_add3_u32 v16, v64, v19, 1                                // 0000000074BC: D1FF0010 02062740
	v_cndmask_b32_e64 v4, v16, v18, s[46:47]                   // 0000000074C4: D1000004 00BA2510
	v_cmp_u_f32_e64 s[46:47], v65, v65                         // 0000000074CC: D048002E 00028341
	v_add3_u32 v16, v65, v19, 1                                // 0000000074D4: D1FF0010 02062741
	v_cndmask_b32_e64 v5, v16, v18, s[46:47]                   // 0000000074DC: D1000005 00BA2510
	v_perm_b32 v60, v5, v4, s52                                // 0000000074E4: D1ED003C 00D20905
	v_cmp_u_f32_e64 s[46:47], v66, v66                         // 0000000074EC: D048002E 00028542
	v_add3_u32 v16, v66, v19, 1                                // 0000000074F4: D1FF0010 02062742
	v_cndmask_b32_e64 v4, v16, v18, s[46:47]                   // 0000000074FC: D1000004 00BA2510
	v_cmp_u_f32_e64 s[46:47], v67, v67                         // 000000007504: D048002E 00028743
	v_add3_u32 v16, v67, v19, 1                                // 00000000750C: D1FF0010 02062743
	v_cndmask_b32_e64 v5, v16, v18, s[46:47]                   // 000000007514: D1000005 00BA2510
	v_perm_b32 v61, v5, v4, s52                                // 00000000751C: D1ED003D 00D20905
	v_cmp_u_f32_e64 s[46:47], v68, v68                         // 000000007524: D048002E 00028944
	v_add3_u32 v16, v68, v19, 1                                // 00000000752C: D1FF0010 02062744
	v_cndmask_b32_e64 v4, v16, v18, s[46:47]                   // 000000007534: D1000004 00BA2510
	v_cmp_u_f32_e64 s[46:47], v69, v69                         // 00000000753C: D048002E 00028B45
	v_add3_u32 v16, v69, v19, 1                                // 000000007544: D1FF0010 02062745
	v_cndmask_b32_e64 v5, v16, v18, s[46:47]                   // 00000000754C: D1000005 00BA2510
	v_perm_b32 v62, v5, v4, s52                                // 000000007554: D1ED003E 00D20905
	v_cmp_u_f32_e64 s[46:47], v70, v70                         // 00000000755C: D048002E 00028D46
	v_add3_u32 v16, v70, v19, 1                                // 000000007564: D1FF0010 02062746
	v_cndmask_b32_e64 v4, v16, v18, s[46:47]                   // 00000000756C: D1000004 00BA2510
	v_cmp_u_f32_e64 s[46:47], v71, v71                         // 000000007574: D048002E 00028F47
	v_add3_u32 v16, v71, v19, 1                                // 00000000757C: D1FF0010 02062747
	v_cndmask_b32_e64 v5, v16, v18, s[46:47]                   // 000000007584: D1000005 00BA2510
	v_perm_b32 v63, v5, v4, s52                                // 00000000758C: D1ED003F 00D20905
	v_cmp_u_f32_e64 s[46:47], v72, v72                         // 000000007594: D048002E 00029148
	v_add3_u32 v16, v72, v19, 1                                // 00000000759C: D1FF0010 02062748
	v_cndmask_b32_e64 v4, v16, v18, s[46:47]                   // 0000000075A4: D1000004 00BA2510
	v_cmp_u_f32_e64 s[46:47], v73, v73                         // 0000000075AC: D048002E 00029349
	v_add3_u32 v16, v73, v19, 1                                // 0000000075B4: D1FF0010 02062749
	v_cndmask_b32_e64 v5, v16, v18, s[46:47]                   // 0000000075BC: D1000005 00BA2510
	v_perm_b32 v64, v5, v4, s52                                // 0000000075C4: D1ED0040 00D20905
	v_cmp_u_f32_e64 s[46:47], v74, v74                         // 0000000075CC: D048002E 0002954A
	v_add3_u32 v16, v74, v19, 1                                // 0000000075D4: D1FF0010 0206274A
	v_cndmask_b32_e64 v4, v16, v18, s[46:47]                   // 0000000075DC: D1000004 00BA2510
	v_cmp_u_f32_e64 s[46:47], v75, v75                         // 0000000075E4: D048002E 0002974B
	v_add3_u32 v16, v75, v19, 1                                // 0000000075EC: D1FF0010 0206274B
	v_cndmask_b32_e64 v5, v16, v18, s[46:47]                   // 0000000075F4: D1000005 00BA2510
	v_perm_b32 v65, v5, v4, s52                                // 0000000075FC: D1ED0041 00D20905
	v_cmp_u_f32_e64 s[46:47], v76, v76                         // 000000007604: D048002E 0002994C
	v_add3_u32 v16, v76, v19, 1                                // 00000000760C: D1FF0010 0206274C
	v_cndmask_b32_e64 v4, v16, v18, s[46:47]                   // 000000007614: D1000004 00BA2510
	v_cmp_u_f32_e64 s[46:47], v77, v77                         // 00000000761C: D048002E 00029B4D
	v_add3_u32 v16, v77, v19, 1                                // 000000007624: D1FF0010 0206274D
	v_cndmask_b32_e64 v5, v16, v18, s[46:47]                   // 00000000762C: D1000005 00BA2510
	v_perm_b32 v66, v5, v4, s52                                // 000000007634: D1ED0042 00D20905
	v_cmp_u_f32_e64 s[46:47], v78, v78                         // 00000000763C: D048002E 00029D4E
	v_add3_u32 v16, v78, v19, 1                                // 000000007644: D1FF0010 0206274E
	v_cndmask_b32_e64 v4, v16, v18, s[46:47]                   // 00000000764C: D1000004 00BA2510
	v_cmp_u_f32_e64 s[46:47], v79, v79                         // 000000007654: D048002E 00029F4F
	v_add3_u32 v16, v79, v19, 1                                // 00000000765C: D1FF0010 0206274F
	v_cndmask_b32_e64 v5, v16, v18, s[46:47]                   // 000000007664: D1000005 00BA2510
	v_perm_b32 v67, v5, v4, s52                                // 00000000766C: D1ED0043 00D20905
	v_cmp_u_f32_e64 s[46:47], v80, v80                         // 000000007674: D048002E 0002A150
	v_add3_u32 v16, v80, v19, 1                                // 00000000767C: D1FF0010 02062750
	v_cndmask_b32_e64 v4, v16, v18, s[46:47]                   // 000000007684: D1000004 00BA2510
	v_cmp_u_f32_e64 s[46:47], v81, v81                         // 00000000768C: D048002E 0002A351
	v_add3_u32 v16, v81, v19, 1                                // 000000007694: D1FF0010 02062751
	v_cndmask_b32_e64 v5, v16, v18, s[46:47]                   // 00000000769C: D1000005 00BA2510
	v_perm_b32 v68, v5, v4, s52                                // 0000000076A4: D1ED0044 00D20905
	v_cmp_u_f32_e64 s[46:47], v82, v82                         // 0000000076AC: D048002E 0002A552
	v_add3_u32 v16, v82, v19, 1                                // 0000000076B4: D1FF0010 02062752
	v_cndmask_b32_e64 v4, v16, v18, s[46:47]                   // 0000000076BC: D1000004 00BA2510
	v_cmp_u_f32_e64 s[46:47], v83, v83                         // 0000000076C4: D048002E 0002A753
	v_add3_u32 v16, v83, v19, 1                                // 0000000076CC: D1FF0010 02062753
	v_cndmask_b32_e64 v5, v16, v18, s[46:47]                   // 0000000076D4: D1000005 00BA2510
	v_perm_b32 v69, v5, v4, s52                                // 0000000076DC: D1ED0045 00D20905
	v_cmp_u_f32_e64 s[46:47], v84, v84                         // 0000000076E4: D048002E 0002A954
	v_add3_u32 v16, v84, v19, 1                                // 0000000076EC: D1FF0010 02062754
	v_cndmask_b32_e64 v4, v16, v18, s[46:47]                   // 0000000076F4: D1000004 00BA2510
	v_cmp_u_f32_e64 s[46:47], v85, v85                         // 0000000076FC: D048002E 0002AB55
	v_add3_u32 v16, v85, v19, 1                                // 000000007704: D1FF0010 02062755
	v_cndmask_b32_e64 v5, v16, v18, s[46:47]                   // 00000000770C: D1000005 00BA2510
	v_perm_b32 v70, v5, v4, s52                                // 000000007714: D1ED0046 00D20905
	v_cmp_u_f32_e64 s[46:47], v86, v86                         // 00000000771C: D048002E 0002AD56
	v_add3_u32 v16, v86, v19, 1                                // 000000007724: D1FF0010 02062756
	v_cndmask_b32_e64 v4, v16, v18, s[46:47]                   // 00000000772C: D1000004 00BA2510
	v_cmp_u_f32_e64 s[46:47], v87, v87                         // 000000007734: D048002E 0002AF57
	v_add3_u32 v16, v87, v19, 1                                // 00000000773C: D1FF0010 02062757
	v_cndmask_b32_e64 v5, v16, v18, s[46:47]                   // 000000007744: D1000005 00BA2510
	v_perm_b32 v71, v5, v4, s52                                // 00000000774C: D1ED0047 00D20905
	ds_write_b64 v20, v[56:57]                                 // 000000007754: D89A0000 00003814
	ds_write_b64 v20, v[58:59] offset:4352                     // 00000000775C: D89A1100 00003A14
	ds_write_b64 v20, v[60:61] offset:8704                     // 000000007764: D89A2200 00003C14
	ds_write_b64 v20, v[62:63] offset:13056                    // 00000000776C: D89A3300 00003E14
	ds_write_b64 v20, v[64:65] offset:2176                     // 000000007774: D89A0880 00004014
	ds_write_b64 v20, v[66:67] offset:6528                     // 00000000777C: D89A1980 00004214
	ds_write_b64 v20, v[68:69] offset:10880                    // 000000007784: D89A2A80 00004414
	ds_write_b64 v20, v[70:71] offset:15232                    // 00000000778C: D89A3B80 00004614
	v_lshrrev_b32_e32 v4, 5, v0                                // 000000007794: 20080085
	v_xor_b32_e32 v5, 1, v4                                    // 000000007798: 2A0A0881
	s_mul_i32 s60, s65, 2                                      // 00000000779C: 923C8241
	s_cmp_eq_u32 s88, 0                                        // 0000000077A0: BF068058
	s_cselect_b32 s61, 1, 4                                    // 0000000077A4: 853D8481
	s_mul_i32 s60, s61, s60                                    // 0000000077A8: 923C3C3D
	v_readlane_b32 s82, v3, 0                                  // 0000000077AC: D2890052 00010103
	s_lshr_b32 s61, s82, 24                                    // 0000000077B4: 8F3D9852
	s_and_b32 s82, s82, 0xffffff                               // 0000000077B8: 8652FF52 00FFFFFF
	s_mul_i32 s82, s82, s71                                    // 0000000077C0: 92524752
	s_mul_i32 s61, s60, s61                                    // 0000000077C4: 923D3D3C
	s_add_u32 s82, s82, s61                                    // 0000000077C8: 80523D52
	v_mul_lo_u32 v6, v5, s82                                   // 0000000077CC: D2850006 0000A505
	v_readlane_b32 s82, v3, 1                                  // 0000000077D4: D2890052 00010303
	s_lshr_b32 s61, s82, 24                                    // 0000000077DC: 8F3D9852
	s_and_b32 s82, s82, 0xffffff                               // 0000000077E0: 8652FF52 00FFFFFF
	s_mul_i32 s82, s82, s71                                    // 0000000077E8: 92524752
	s_mul_i32 s61, s60, s61                                    // 0000000077EC: 923D3D3C
	s_add_u32 s82, s82, s61                                    // 0000000077F0: 80523D52
	v_mul_lo_u32 v7, v4, s82                                   // 0000000077F4: D2850007 0000A504
	v_add_u32_e32 v44, v6, v7                                  // 0000000077FC: 68580F06
	v_readlane_b32 s82, v3, 2                                  // 000000007800: D2890052 00010503
	s_lshr_b32 s61, s82, 24                                    // 000000007808: 8F3D9852
	s_and_b32 s82, s82, 0xffffff                               // 00000000780C: 8652FF52 00FFFFFF
	s_mul_i32 s82, s82, s71                                    // 000000007814: 92524752
	s_mul_i32 s61, s60, s61                                    // 000000007818: 923D3D3C
	s_add_u32 s82, s82, s61                                    // 00000000781C: 80523D52
	v_mul_lo_u32 v6, v5, s82                                   // 000000007820: D2850006 0000A505
	v_readlane_b32 s82, v3, 3                                  // 000000007828: D2890052 00010703
	s_lshr_b32 s61, s82, 24                                    // 000000007830: 8F3D9852
	s_and_b32 s82, s82, 0xffffff                               // 000000007834: 8652FF52 00FFFFFF
	s_mul_i32 s82, s82, s71                                    // 00000000783C: 92524752
	s_mul_i32 s61, s60, s61                                    // 000000007840: 923D3D3C
	s_add_u32 s82, s82, s61                                    // 000000007844: 80523D52
	v_mul_lo_u32 v7, v4, s82                                   // 000000007848: D2850007 0000A504
	v_add_u32_e32 v45, v6, v7                                  // 000000007850: 685A0F06
	v_readlane_b32 s82, v3, 4                                  // 000000007854: D2890052 00010903
	s_lshr_b32 s61, s82, 24                                    // 00000000785C: 8F3D9852
	s_and_b32 s82, s82, 0xffffff                               // 000000007860: 8652FF52 00FFFFFF
	s_mul_i32 s82, s82, s71                                    // 000000007868: 92524752
	s_mul_i32 s61, s60, s61                                    // 00000000786C: 923D3D3C
	s_add_u32 s82, s82, s61                                    // 000000007870: 80523D52
	v_mul_lo_u32 v6, v5, s82                                   // 000000007874: D2850006 0000A505
	v_readlane_b32 s82, v3, 5                                  // 00000000787C: D2890052 00010B03
	s_lshr_b32 s61, s82, 24                                    // 000000007884: 8F3D9852
	s_and_b32 s82, s82, 0xffffff                               // 000000007888: 8652FF52 00FFFFFF
	s_mul_i32 s82, s82, s71                                    // 000000007890: 92524752
	s_mul_i32 s61, s60, s61                                    // 000000007894: 923D3D3C
	s_add_u32 s82, s82, s61                                    // 000000007898: 80523D52
	v_mul_lo_u32 v7, v4, s82                                   // 00000000789C: D2850007 0000A504
	v_add_u32_e32 v46, v6, v7                                  // 0000000078A4: 685C0F06
	v_readlane_b32 s82, v3, 6                                  // 0000000078A8: D2890052 00010D03
	s_lshr_b32 s61, s82, 24                                    // 0000000078B0: 8F3D9852
	s_and_b32 s82, s82, 0xffffff                               // 0000000078B4: 8652FF52 00FFFFFF
	s_mul_i32 s82, s82, s71                                    // 0000000078BC: 92524752
	s_mul_i32 s61, s60, s61                                    // 0000000078C0: 923D3D3C
	s_add_u32 s82, s82, s61                                    // 0000000078C4: 80523D52
	v_mul_lo_u32 v6, v5, s82                                   // 0000000078C8: D2850006 0000A505
	v_readlane_b32 s82, v3, 7                                  // 0000000078D0: D2890052 00010F03
	s_lshr_b32 s61, s82, 24                                    // 0000000078D8: 8F3D9852
	s_and_b32 s82, s82, 0xffffff                               // 0000000078DC: 8652FF52 00FFFFFF
	s_mul_i32 s82, s82, s71                                    // 0000000078E4: 92524752
	s_mul_i32 s61, s60, s61                                    // 0000000078E8: 923D3D3C
	s_add_u32 s82, s82, s61                                    // 0000000078EC: 80523D52
	v_mul_lo_u32 v7, v4, s82                                   // 0000000078F0: D2850007 0000A504
	v_add_u32_e32 v47, v6, v7                                  // 0000000078F8: 685E0F06
	v_readlane_b32 s82, v3, 8                                  // 0000000078FC: D2890052 00011103
	s_lshr_b32 s61, s82, 24                                    // 000000007904: 8F3D9852
	s_and_b32 s82, s82, 0xffffff                               // 000000007908: 8652FF52 00FFFFFF
	s_mul_i32 s82, s82, s71                                    // 000000007910: 92524752
	s_mul_i32 s61, s60, s61                                    // 000000007914: 923D3D3C
	s_add_u32 s82, s82, s61                                    // 000000007918: 80523D52
	v_mul_lo_u32 v6, v5, s82                                   // 00000000791C: D2850006 0000A505
	v_readlane_b32 s82, v3, 9                                  // 000000007924: D2890052 00011303
	s_lshr_b32 s61, s82, 24                                    // 00000000792C: 8F3D9852
	s_and_b32 s82, s82, 0xffffff                               // 000000007930: 8652FF52 00FFFFFF
	s_mul_i32 s82, s82, s71                                    // 000000007938: 92524752
	s_mul_i32 s61, s60, s61                                    // 00000000793C: 923D3D3C
	s_add_u32 s82, s82, s61                                    // 000000007940: 80523D52
	v_mul_lo_u32 v7, v4, s82                                   // 000000007944: D2850007 0000A504
	v_add_u32_e32 v48, v6, v7                                  // 00000000794C: 68600F06
	v_readlane_b32 s82, v3, 10                                 // 000000007950: D2890052 00011503
	s_lshr_b32 s61, s82, 24                                    // 000000007958: 8F3D9852
	s_and_b32 s82, s82, 0xffffff                               // 00000000795C: 8652FF52 00FFFFFF
	s_mul_i32 s82, s82, s71                                    // 000000007964: 92524752
	s_mul_i32 s61, s60, s61                                    // 000000007968: 923D3D3C
	s_add_u32 s82, s82, s61                                    // 00000000796C: 80523D52
	v_mul_lo_u32 v6, v5, s82                                   // 000000007970: D2850006 0000A505
	v_readlane_b32 s82, v3, 11                                 // 000000007978: D2890052 00011703
	s_lshr_b32 s61, s82, 24                                    // 000000007980: 8F3D9852
	s_and_b32 s82, s82, 0xffffff                               // 000000007984: 8652FF52 00FFFFFF
	s_mul_i32 s82, s82, s71                                    // 00000000798C: 92524752
	s_mul_i32 s61, s60, s61                                    // 000000007990: 923D3D3C
	s_add_u32 s82, s82, s61                                    // 000000007994: 80523D52
	v_mul_lo_u32 v7, v4, s82                                   // 000000007998: D2850007 0000A504
	v_add_u32_e32 v49, v6, v7                                  // 0000000079A0: 68620F06
	v_readlane_b32 s82, v3, 12                                 // 0000000079A4: D2890052 00011903
	s_lshr_b32 s61, s82, 24                                    // 0000000079AC: 8F3D9852
	s_and_b32 s82, s82, 0xffffff                               // 0000000079B0: 8652FF52 00FFFFFF
	s_mul_i32 s82, s82, s71                                    // 0000000079B8: 92524752
	s_mul_i32 s61, s60, s61                                    // 0000000079BC: 923D3D3C
	s_add_u32 s82, s82, s61                                    // 0000000079C0: 80523D52
	v_mul_lo_u32 v6, v5, s82                                   // 0000000079C4: D2850006 0000A505
	v_readlane_b32 s82, v3, 13                                 // 0000000079CC: D2890052 00011B03
	s_lshr_b32 s61, s82, 24                                    // 0000000079D4: 8F3D9852
	s_and_b32 s82, s82, 0xffffff                               // 0000000079D8: 8652FF52 00FFFFFF
	s_mul_i32 s82, s82, s71                                    // 0000000079E0: 92524752
	s_mul_i32 s61, s60, s61                                    // 0000000079E4: 923D3D3C
	s_add_u32 s82, s82, s61                                    // 0000000079E8: 80523D52
	v_mul_lo_u32 v7, v4, s82                                   // 0000000079EC: D2850007 0000A504
	v_add_u32_e32 v50, v6, v7                                  // 0000000079F4: 68640F06
	v_readlane_b32 s82, v3, 14                                 // 0000000079F8: D2890052 00011D03
	s_lshr_b32 s61, s82, 24                                    // 000000007A00: 8F3D9852
	s_and_b32 s82, s82, 0xffffff                               // 000000007A04: 8652FF52 00FFFFFF
	s_mul_i32 s82, s82, s71                                    // 000000007A0C: 92524752
	s_mul_i32 s61, s60, s61                                    // 000000007A10: 923D3D3C
	s_add_u32 s82, s82, s61                                    // 000000007A14: 80523D52
	v_mul_lo_u32 v6, v5, s82                                   // 000000007A18: D2850006 0000A505
	v_readlane_b32 s82, v3, 15                                 // 000000007A20: D2890052 00011F03
	s_lshr_b32 s61, s82, 24                                    // 000000007A28: 8F3D9852
	s_and_b32 s82, s82, 0xffffff                               // 000000007A2C: 8652FF52 00FFFFFF
	s_mul_i32 s82, s82, s71                                    // 000000007A34: 92524752
	s_mul_i32 s61, s60, s61                                    // 000000007A38: 923D3D3C
	s_add_u32 s82, s82, s61                                    // 000000007A3C: 80523D52
	v_mul_lo_u32 v7, v4, s82                                   // 000000007A40: D2850007 0000A504
	v_add_u32_e32 v51, v6, v7                                  // 000000007A48: 68660F06
	v_and_b32_e32 v4, 31, v0                                   // 000000007A4C: 2608009F
	v_lshrrev_b32_e32 v4, 1, v4                                // 000000007A50: 20080881
	s_cmp_eq_u32 s88, 0                                        // 000000007A54: BF068058
	s_cselect_b32 s61, 2, 4                                    // 000000007A58: 853D8482
	v_mul_lo_u32 v4, v4, s61                                   // 000000007A5C: D2850004 00007B04
	v_and_b32_e64 v5, v0, 1                                    // 000000007A64: D1130005 00010300
	v_add_u32_e32 v4, v4, v5                                   // 000000007A6C: 68080B04
	v_lshlrev_b32_e32 v4, 2, v4                                // 000000007A70: 24080882
	v_add_u32_e32 v44, v44, v4                                 // 000000007A74: 6858092C
	v_add_u32_e32 v45, v45, v4                                 // 000000007A78: 685A092D
	v_add_u32_e32 v46, v46, v4                                 // 000000007A7C: 685C092E
	v_add_u32_e32 v47, v47, v4                                 // 000000007A80: 685E092F
	v_add_u32_e32 v48, v48, v4                                 // 000000007A84: 68600930
	v_add_u32_e32 v49, v49, v4                                 // 000000007A88: 68620931
	v_add_u32_e32 v50, v50, v4                                 // 000000007A8C: 68640932
	v_add_u32_e32 v51, v51, v4                                 // 000000007A90: 68660933
	s_waitcnt lgkmcnt(0)                                       // 000000007A94: BF8CC07F
	s_barrier                                                  // 000000007A98: BF8A0000
	ds_read_b32 v56, v21                                       // 000000007A9C: D86C0000 38000015
	ds_read_b32 v57, v21 offset:64                             // 000000007AA4: D86C0040 39000015
	ds_read_b32 v58, v21 offset:2176                           // 000000007AAC: D86C0880 3A000015
	ds_read_b32 v59, v21 offset:2240                           // 000000007AB4: D86C08C0 3B000015
	ds_read_b32 v60, v21 offset:4352                           // 000000007ABC: D86C1100 3C000015
	ds_read_b32 v61, v21 offset:4416                           // 000000007AC4: D86C1140 3D000015
	ds_read_b32 v62, v21 offset:6528                           // 000000007ACC: D86C1980 3E000015
	ds_read_b32 v63, v21 offset:6592                           // 000000007AD4: D86C19C0 3F000015
	ds_read_b32 v64, v21 offset:8704                           // 000000007ADC: D86C2200 40000015
	ds_read_b32 v65, v21 offset:8768                           // 000000007AE4: D86C2240 41000015
	ds_read_b32 v66, v21 offset:10880                          // 000000007AEC: D86C2A80 42000015
	ds_read_b32 v67, v21 offset:10944                          // 000000007AF4: D86C2AC0 43000015
	ds_read_b32 v68, v21 offset:13056                          // 000000007AFC: D86C3300 44000015
	ds_read_b32 v69, v21 offset:13120                          // 000000007B04: D86C3340 45000015
	ds_read_b32 v70, v21 offset:15232                          // 000000007B0C: D86C3B80 46000015
	ds_read_b32 v71, v21 offset:15296                          // 000000007B14: D86C3BC0 47000015
	s_waitcnt lgkmcnt(0)                                       // 000000007B1C: BF8CC07F
	s_mov_b32 s36, -1                                          // 000000007B20: BEA400C1
	s_mov_b32 s37, -1                                          // 000000007B24: BEA500C1
	v_mov_b32_e32 v7, 0                                        // 000000007B28: 7E0E0280
	s_or_b32 s9, s9, 0x40000                                   // 000000007B2C: 8709FF09 00040000
	s_mov_b64 exec, s[36:37]                                   // 000000007B34: BEFE0124
	v_mov_b32_e32 v6, v44                                      // 000000007B38: 7E0C032C
	s_mov_b64 s[60:61], 0                                      // 000000007B3C: BEBC0180
	v_readlane_b32 s82, v3, 0                                  // 000000007B40: D2890052 00010103
	s_and_b32 s82, s82, 0xffffff                               // 000000007B48: 8652FF52 00FFFFFF
	s_cmp_lt_u32 s82, s66                                      // 000000007B50: BF0A4252
	s_cselect_b32 s20, s36, s60                                // 000000007B54: 85143C24
	v_readlane_b32 s82, v3, 1                                  // 000000007B58: D2890052 00010303
	s_and_b32 s82, s82, 0xffffff                               // 000000007B60: 8652FF52 00FFFFFF
	s_cmp_lt_u32 s82, s66                                      // 000000007B68: BF0A4252
	s_cselect_b32 s21, s36, s60                                // 000000007B6C: 85153C24
	s_mov_b64 exec, s[20:21]                                   // 000000007B70: BEFE0114
	buffer_store_dword v56, v6, s[8:11], 0 offen               // 000000007B74: E0701000 80023806
	buffer_store_dword v58, v6, s[8:11], 0 offen offset:128    // 000000007B7C: E0701080 80023A06
	s_mov_b64 exec, s[36:37]                                   // 000000007B84: BEFE0124
	v_mov_b32_e32 v6, v45                                      // 000000007B88: 7E0C032D
	s_mov_b64 s[60:61], 0                                      // 000000007B8C: BEBC0180
	v_readlane_b32 s82, v3, 2                                  // 000000007B90: D2890052 00010503
	s_and_b32 s82, s82, 0xffffff                               // 000000007B98: 8652FF52 00FFFFFF
	s_cmp_lt_u32 s82, s66                                      // 000000007BA0: BF0A4252
	s_cselect_b32 s20, s36, s60                                // 000000007BA4: 85143C24
	v_readlane_b32 s82, v3, 3                                  // 000000007BA8: D2890052 00010703
	s_and_b32 s82, s82, 0xffffff                               // 000000007BB0: 8652FF52 00FFFFFF
	s_cmp_lt_u32 s82, s66                                      // 000000007BB8: BF0A4252
	s_cselect_b32 s21, s36, s60                                // 000000007BBC: 85153C24
	s_mov_b64 exec, s[20:21]                                   // 000000007BC0: BEFE0114
	buffer_store_dword v57, v6, s[8:11], 0 offen               // 000000007BC4: E0701000 80023906
	buffer_store_dword v59, v6, s[8:11], 0 offen offset:128    // 000000007BCC: E0701080 80023B06
	s_mov_b64 exec, s[36:37]                                   // 000000007BD4: BEFE0124
	v_mov_b32_e32 v6, v46                                      // 000000007BD8: 7E0C032E
	s_mov_b64 s[60:61], 0                                      // 000000007BDC: BEBC0180
	v_readlane_b32 s82, v3, 4                                  // 000000007BE0: D2890052 00010903
	s_and_b32 s82, s82, 0xffffff                               // 000000007BE8: 8652FF52 00FFFFFF
	s_cmp_lt_u32 s82, s66                                      // 000000007BF0: BF0A4252
	s_cselect_b32 s20, s36, s60                                // 000000007BF4: 85143C24
	v_readlane_b32 s82, v3, 5                                  // 000000007BF8: D2890052 00010B03
	s_and_b32 s82, s82, 0xffffff                               // 000000007C00: 8652FF52 00FFFFFF
	s_cmp_lt_u32 s82, s66                                      // 000000007C08: BF0A4252
	s_cselect_b32 s21, s36, s60                                // 000000007C0C: 85153C24
	s_mov_b64 exec, s[20:21]                                   // 000000007C10: BEFE0114
	buffer_store_dword v60, v6, s[8:11], 0 offen               // 000000007C14: E0701000 80023C06
	buffer_store_dword v62, v6, s[8:11], 0 offen offset:128    // 000000007C1C: E0701080 80023E06
	s_mov_b64 exec, s[36:37]                                   // 000000007C24: BEFE0124
	v_mov_b32_e32 v6, v47                                      // 000000007C28: 7E0C032F
	s_mov_b64 s[60:61], 0                                      // 000000007C2C: BEBC0180
	v_readlane_b32 s82, v3, 6                                  // 000000007C30: D2890052 00010D03
	s_and_b32 s82, s82, 0xffffff                               // 000000007C38: 8652FF52 00FFFFFF
	s_cmp_lt_u32 s82, s66                                      // 000000007C40: BF0A4252
	s_cselect_b32 s20, s36, s60                                // 000000007C44: 85143C24
	v_readlane_b32 s82, v3, 7                                  // 000000007C48: D2890052 00010F03
	s_and_b32 s82, s82, 0xffffff                               // 000000007C50: 8652FF52 00FFFFFF
	s_cmp_lt_u32 s82, s66                                      // 000000007C58: BF0A4252
	s_cselect_b32 s21, s36, s60                                // 000000007C5C: 85153C24
	s_mov_b64 exec, s[20:21]                                   // 000000007C60: BEFE0114
	buffer_store_dword v61, v6, s[8:11], 0 offen               // 000000007C64: E0701000 80023D06
	buffer_store_dword v63, v6, s[8:11], 0 offen offset:128    // 000000007C6C: E0701080 80023F06
	s_mov_b64 exec, s[36:37]                                   // 000000007C74: BEFE0124
	v_mov_b32_e32 v6, v48                                      // 000000007C78: 7E0C0330
	s_mov_b64 s[60:61], 0                                      // 000000007C7C: BEBC0180
	v_readlane_b32 s82, v3, 8                                  // 000000007C80: D2890052 00011103
	s_and_b32 s82, s82, 0xffffff                               // 000000007C88: 8652FF52 00FFFFFF
	s_cmp_lt_u32 s82, s66                                      // 000000007C90: BF0A4252
	s_cselect_b32 s20, s36, s60                                // 000000007C94: 85143C24
	v_readlane_b32 s82, v3, 9                                  // 000000007C98: D2890052 00011303
	s_and_b32 s82, s82, 0xffffff                               // 000000007CA0: 8652FF52 00FFFFFF
	s_cmp_lt_u32 s82, s66                                      // 000000007CA8: BF0A4252
	s_cselect_b32 s21, s36, s60                                // 000000007CAC: 85153C24
	s_mov_b64 exec, s[20:21]                                   // 000000007CB0: BEFE0114
	buffer_store_dword v64, v6, s[8:11], 0 offen               // 000000007CB4: E0701000 80024006
	buffer_store_dword v66, v6, s[8:11], 0 offen offset:128    // 000000007CBC: E0701080 80024206
	s_mov_b64 exec, s[36:37]                                   // 000000007CC4: BEFE0124
	v_mov_b32_e32 v6, v49                                      // 000000007CC8: 7E0C0331
	s_mov_b64 s[60:61], 0                                      // 000000007CCC: BEBC0180
	v_readlane_b32 s82, v3, 10                                 // 000000007CD0: D2890052 00011503
	s_and_b32 s82, s82, 0xffffff                               // 000000007CD8: 8652FF52 00FFFFFF
	s_cmp_lt_u32 s82, s66                                      // 000000007CE0: BF0A4252
	s_cselect_b32 s20, s36, s60                                // 000000007CE4: 85143C24
	v_readlane_b32 s82, v3, 11                                 // 000000007CE8: D2890052 00011703
	s_and_b32 s82, s82, 0xffffff                               // 000000007CF0: 8652FF52 00FFFFFF
	s_cmp_lt_u32 s82, s66                                      // 000000007CF8: BF0A4252
	s_cselect_b32 s21, s36, s60                                // 000000007CFC: 85153C24
	s_mov_b64 exec, s[20:21]                                   // 000000007D00: BEFE0114
	buffer_store_dword v65, v6, s[8:11], 0 offen               // 000000007D04: E0701000 80024106
	buffer_store_dword v67, v6, s[8:11], 0 offen offset:128    // 000000007D0C: E0701080 80024306
	s_mov_b64 exec, s[36:37]                                   // 000000007D14: BEFE0124
	v_mov_b32_e32 v6, v50                                      // 000000007D18: 7E0C0332
	s_mov_b64 s[60:61], 0                                      // 000000007D1C: BEBC0180
	v_readlane_b32 s82, v3, 12                                 // 000000007D20: D2890052 00011903
	s_and_b32 s82, s82, 0xffffff                               // 000000007D28: 8652FF52 00FFFFFF
	s_cmp_lt_u32 s82, s66                                      // 000000007D30: BF0A4252
	s_cselect_b32 s20, s36, s60                                // 000000007D34: 85143C24
	v_readlane_b32 s82, v3, 13                                 // 000000007D38: D2890052 00011B03
	s_and_b32 s82, s82, 0xffffff                               // 000000007D40: 8652FF52 00FFFFFF
	s_cmp_lt_u32 s82, s66                                      // 000000007D48: BF0A4252
	s_cselect_b32 s21, s36, s60                                // 000000007D4C: 85153C24
	s_mov_b64 exec, s[20:21]                                   // 000000007D50: BEFE0114
	buffer_store_dword v68, v6, s[8:11], 0 offen               // 000000007D54: E0701000 80024406
	buffer_store_dword v70, v6, s[8:11], 0 offen offset:128    // 000000007D5C: E0701080 80024606
	s_mov_b64 exec, s[36:37]                                   // 000000007D64: BEFE0124
	v_mov_b32_e32 v6, v51                                      // 000000007D68: 7E0C0333
	s_mov_b64 s[60:61], 0                                      // 000000007D6C: BEBC0180
	v_readlane_b32 s82, v3, 14                                 // 000000007D70: D2890052 00011D03
	s_and_b32 s82, s82, 0xffffff                               // 000000007D78: 8652FF52 00FFFFFF
	s_cmp_lt_u32 s82, s66                                      // 000000007D80: BF0A4252
	s_cselect_b32 s20, s36, s60                                // 000000007D84: 85143C24
	v_readlane_b32 s82, v3, 15                                 // 000000007D88: D2890052 00011F03
	s_and_b32 s82, s82, 0xffffff                               // 000000007D90: 8652FF52 00FFFFFF
	s_cmp_lt_u32 s82, s66                                      // 000000007D98: BF0A4252
	s_cselect_b32 s21, s36, s60                                // 000000007D9C: 85153C24
	s_mov_b64 exec, s[20:21]                                   // 000000007DA0: BEFE0114
	buffer_store_dword v69, v6, s[8:11], 0 offen               // 000000007DA4: E0701000 80024506
	buffer_store_dword v71, v6, s[8:11], 0 offen offset:128    // 000000007DAC: E0701080 80024706
	s_mov_b64 exec, s[36:37]                                   // 000000007DB4: BEFE0124
	s_branch label_190C                                        // 000000007DB8: BF82041A

0000000000007dbc <label_14F2>:
	ds_write_b64 v20, v[56:57]                                 // 000000007DBC: D89A0000 00003814
	ds_write_b64 v20, v[60:61] offset:4352                     // 000000007DC4: D89A1100 00003C14
	ds_write_b64 v20, v[64:65] offset:8704                     // 000000007DCC: D89A2200 00004014
	ds_write_b64 v20, v[68:69] offset:13056                    // 000000007DD4: D89A3300 00004414
	ds_write_b64 v20, v[72:73] offset:2176                     // 000000007DDC: D89A0880 00004814
	ds_write_b64 v20, v[76:77] offset:6528                     // 000000007DE4: D89A1980 00004C14
	ds_write_b64 v20, v[80:81] offset:10880                    // 000000007DEC: D89A2A80 00005014
	ds_write_b64 v20, v[84:85] offset:15232                    // 000000007DF4: D89A3B80 00005414
	v_lshrrev_b32_e32 v4, 5, v0                                // 000000007DFC: 20080085
	v_xor_b32_e32 v5, 1, v4                                    // 000000007E00: 2A0A0881
	s_mul_i32 s60, s65, 2                                      // 000000007E04: 923C8241
	s_cmp_eq_u32 s88, 0                                        // 000000007E08: BF068058
	s_cselect_b32 s61, 1, 4                                    // 000000007E0C: 853D8481
	s_mul_i32 s60, s61, s60                                    // 000000007E10: 923C3C3D
	v_readlane_b32 s82, v3, 0                                  // 000000007E14: D2890052 00010103
	s_lshr_b32 s61, s82, 24                                    // 000000007E1C: 8F3D9852
	s_and_b32 s82, s82, 0xffffff                               // 000000007E20: 8652FF52 00FFFFFF
	s_mul_i32 s82, s82, s71                                    // 000000007E28: 92524752
	s_mul_i32 s61, s60, s61                                    // 000000007E2C: 923D3D3C
	s_add_u32 s82, s82, s61                                    // 000000007E30: 80523D52
	v_mul_lo_u32 v6, v5, s82                                   // 000000007E34: D2850006 0000A505
	v_readlane_b32 s82, v3, 1                                  // 000000007E3C: D2890052 00010303
	s_lshr_b32 s61, s82, 24                                    // 000000007E44: 8F3D9852
	s_and_b32 s82, s82, 0xffffff                               // 000000007E48: 8652FF52 00FFFFFF
	s_mul_i32 s82, s82, s71                                    // 000000007E50: 92524752
	s_mul_i32 s61, s60, s61                                    // 000000007E54: 923D3D3C
	s_add_u32 s82, s82, s61                                    // 000000007E58: 80523D52
	v_mul_lo_u32 v7, v4, s82                                   // 000000007E5C: D2850007 0000A504
	v_add_u32_e32 v44, v6, v7                                  // 000000007E64: 68580F06
	v_readlane_b32 s82, v3, 2                                  // 000000007E68: D2890052 00010503
	s_lshr_b32 s61, s82, 24                                    // 000000007E70: 8F3D9852
	s_and_b32 s82, s82, 0xffffff                               // 000000007E74: 8652FF52 00FFFFFF
	s_mul_i32 s82, s82, s71                                    // 000000007E7C: 92524752
	s_mul_i32 s61, s60, s61                                    // 000000007E80: 923D3D3C
	s_add_u32 s82, s82, s61                                    // 000000007E84: 80523D52
	v_mul_lo_u32 v6, v5, s82                                   // 000000007E88: D2850006 0000A505
	v_readlane_b32 s82, v3, 3                                  // 000000007E90: D2890052 00010703
	s_lshr_b32 s61, s82, 24                                    // 000000007E98: 8F3D9852
	s_and_b32 s82, s82, 0xffffff                               // 000000007E9C: 8652FF52 00FFFFFF
	s_mul_i32 s82, s82, s71                                    // 000000007EA4: 92524752
	s_mul_i32 s61, s60, s61                                    // 000000007EA8: 923D3D3C
	s_add_u32 s82, s82, s61                                    // 000000007EAC: 80523D52
	v_mul_lo_u32 v7, v4, s82                                   // 000000007EB0: D2850007 0000A504
	v_add_u32_e32 v45, v6, v7                                  // 000000007EB8: 685A0F06
	v_readlane_b32 s82, v3, 4                                  // 000000007EBC: D2890052 00010903
	s_lshr_b32 s61, s82, 24                                    // 000000007EC4: 8F3D9852
	s_and_b32 s82, s82, 0xffffff                               // 000000007EC8: 8652FF52 00FFFFFF
	s_mul_i32 s82, s82, s71                                    // 000000007ED0: 92524752
	s_mul_i32 s61, s60, s61                                    // 000000007ED4: 923D3D3C
	s_add_u32 s82, s82, s61                                    // 000000007ED8: 80523D52
	v_mul_lo_u32 v6, v5, s82                                   // 000000007EDC: D2850006 0000A505
	v_readlane_b32 s82, v3, 5                                  // 000000007EE4: D2890052 00010B03
	s_lshr_b32 s61, s82, 24                                    // 000000007EEC: 8F3D9852
	s_and_b32 s82, s82, 0xffffff                               // 000000007EF0: 8652FF52 00FFFFFF
	s_mul_i32 s82, s82, s71                                    // 000000007EF8: 92524752
	s_mul_i32 s61, s60, s61                                    // 000000007EFC: 923D3D3C
	s_add_u32 s82, s82, s61                                    // 000000007F00: 80523D52
	v_mul_lo_u32 v7, v4, s82                                   // 000000007F04: D2850007 0000A504
	v_add_u32_e32 v46, v6, v7                                  // 000000007F0C: 685C0F06
	v_readlane_b32 s82, v3, 6                                  // 000000007F10: D2890052 00010D03
	s_lshr_b32 s61, s82, 24                                    // 000000007F18: 8F3D9852
	s_and_b32 s82, s82, 0xffffff                               // 000000007F1C: 8652FF52 00FFFFFF
	s_mul_i32 s82, s82, s71                                    // 000000007F24: 92524752
	s_mul_i32 s61, s60, s61                                    // 000000007F28: 923D3D3C
	s_add_u32 s82, s82, s61                                    // 000000007F2C: 80523D52
	v_mul_lo_u32 v6, v5, s82                                   // 000000007F30: D2850006 0000A505
	v_readlane_b32 s82, v3, 7                                  // 000000007F38: D2890052 00010F03
	s_lshr_b32 s61, s82, 24                                    // 000000007F40: 8F3D9852
	s_and_b32 s82, s82, 0xffffff                               // 000000007F44: 8652FF52 00FFFFFF
	s_mul_i32 s82, s82, s71                                    // 000000007F4C: 92524752
	s_mul_i32 s61, s60, s61                                    // 000000007F50: 923D3D3C
	s_add_u32 s82, s82, s61                                    // 000000007F54: 80523D52
	v_mul_lo_u32 v7, v4, s82                                   // 000000007F58: D2850007 0000A504
	v_add_u32_e32 v47, v6, v7                                  // 000000007F60: 685E0F06
	v_readlane_b32 s82, v3, 8                                  // 000000007F64: D2890052 00011103
	s_lshr_b32 s61, s82, 24                                    // 000000007F6C: 8F3D9852
	s_and_b32 s82, s82, 0xffffff                               // 000000007F70: 8652FF52 00FFFFFF
	s_mul_i32 s82, s82, s71                                    // 000000007F78: 92524752
	s_mul_i32 s61, s60, s61                                    // 000000007F7C: 923D3D3C
	s_add_u32 s82, s82, s61                                    // 000000007F80: 80523D52
	v_mul_lo_u32 v6, v5, s82                                   // 000000007F84: D2850006 0000A505
	v_readlane_b32 s82, v3, 9                                  // 000000007F8C: D2890052 00011303
	s_lshr_b32 s61, s82, 24                                    // 000000007F94: 8F3D9852
	s_and_b32 s82, s82, 0xffffff                               // 000000007F98: 8652FF52 00FFFFFF
	s_mul_i32 s82, s82, s71                                    // 000000007FA0: 92524752
	s_mul_i32 s61, s60, s61                                    // 000000007FA4: 923D3D3C
	s_add_u32 s82, s82, s61                                    // 000000007FA8: 80523D52
	v_mul_lo_u32 v7, v4, s82                                   // 000000007FAC: D2850007 0000A504
	v_add_u32_e32 v48, v6, v7                                  // 000000007FB4: 68600F06
	v_readlane_b32 s82, v3, 10                                 // 000000007FB8: D2890052 00011503
	s_lshr_b32 s61, s82, 24                                    // 000000007FC0: 8F3D9852
	s_and_b32 s82, s82, 0xffffff                               // 000000007FC4: 8652FF52 00FFFFFF
	s_mul_i32 s82, s82, s71                                    // 000000007FCC: 92524752
	s_mul_i32 s61, s60, s61                                    // 000000007FD0: 923D3D3C
	s_add_u32 s82, s82, s61                                    // 000000007FD4: 80523D52
	v_mul_lo_u32 v6, v5, s82                                   // 000000007FD8: D2850006 0000A505
	v_readlane_b32 s82, v3, 11                                 // 000000007FE0: D2890052 00011703
	s_lshr_b32 s61, s82, 24                                    // 000000007FE8: 8F3D9852
	s_and_b32 s82, s82, 0xffffff                               // 000000007FEC: 8652FF52 00FFFFFF
	s_mul_i32 s82, s82, s71                                    // 000000007FF4: 92524752
	s_mul_i32 s61, s60, s61                                    // 000000007FF8: 923D3D3C
	s_add_u32 s82, s82, s61                                    // 000000007FFC: 80523D52
	v_mul_lo_u32 v7, v4, s82                                   // 000000008000: D2850007 0000A504
	v_add_u32_e32 v49, v6, v7                                  // 000000008008: 68620F06
	v_readlane_b32 s82, v3, 12                                 // 00000000800C: D2890052 00011903
	s_lshr_b32 s61, s82, 24                                    // 000000008014: 8F3D9852
	s_and_b32 s82, s82, 0xffffff                               // 000000008018: 8652FF52 00FFFFFF
	s_mul_i32 s82, s82, s71                                    // 000000008020: 92524752
	s_mul_i32 s61, s60, s61                                    // 000000008024: 923D3D3C
	s_add_u32 s82, s82, s61                                    // 000000008028: 80523D52
	v_mul_lo_u32 v6, v5, s82                                   // 00000000802C: D2850006 0000A505
	v_readlane_b32 s82, v3, 13                                 // 000000008034: D2890052 00011B03
	s_lshr_b32 s61, s82, 24                                    // 00000000803C: 8F3D9852
	s_and_b32 s82, s82, 0xffffff                               // 000000008040: 8652FF52 00FFFFFF
	s_mul_i32 s82, s82, s71                                    // 000000008048: 92524752
	s_mul_i32 s61, s60, s61                                    // 00000000804C: 923D3D3C
	s_add_u32 s82, s82, s61                                    // 000000008050: 80523D52
	v_mul_lo_u32 v7, v4, s82                                   // 000000008054: D2850007 0000A504
	v_add_u32_e32 v50, v6, v7                                  // 00000000805C: 68640F06
	v_readlane_b32 s82, v3, 14                                 // 000000008060: D2890052 00011D03
	s_lshr_b32 s61, s82, 24                                    // 000000008068: 8F3D9852
	s_and_b32 s82, s82, 0xffffff                               // 00000000806C: 8652FF52 00FFFFFF
	s_mul_i32 s82, s82, s71                                    // 000000008074: 92524752
	s_mul_i32 s61, s60, s61                                    // 000000008078: 923D3D3C
	s_add_u32 s82, s82, s61                                    // 00000000807C: 80523D52
	v_mul_lo_u32 v6, v5, s82                                   // 000000008080: D2850006 0000A505
	v_readlane_b32 s82, v3, 15                                 // 000000008088: D2890052 00011F03
	s_lshr_b32 s61, s82, 24                                    // 000000008090: 8F3D9852
	s_and_b32 s82, s82, 0xffffff                               // 000000008094: 8652FF52 00FFFFFF
	s_mul_i32 s82, s82, s71                                    // 00000000809C: 92524752
	s_mul_i32 s61, s60, s61                                    // 0000000080A0: 923D3D3C
	s_add_u32 s82, s82, s61                                    // 0000000080A4: 80523D52
	v_mul_lo_u32 v7, v4, s82                                   // 0000000080A8: D2850007 0000A504
	v_add_u32_e32 v51, v6, v7                                  // 0000000080B0: 68660F06
	v_and_b32_e32 v4, 31, v0                                   // 0000000080B4: 2608009F
	v_lshrrev_b32_e32 v4, 1, v4                                // 0000000080B8: 20080881
	s_cmp_eq_u32 s88, 0                                        // 0000000080BC: BF068058
	s_cselect_b32 s61, 2, 4                                    // 0000000080C0: 853D8482
	v_mul_lo_u32 v4, v4, s61                                   // 0000000080C4: D2850004 00007B04
	v_and_b32_e64 v5, v0, 1                                    // 0000000080CC: D1130005 00010300
	v_add_u32_e32 v4, v4, v5                                   // 0000000080D4: 68080B04
	v_lshlrev_b32_e32 v4, 2, v4                                // 0000000080D8: 24080882
	v_add_u32_e32 v44, v44, v4                                 // 0000000080DC: 6858092C
	v_add_u32_e32 v45, v45, v4                                 // 0000000080E0: 685A092D
	v_add_u32_e32 v46, v46, v4                                 // 0000000080E4: 685C092E
	v_add_u32_e32 v47, v47, v4                                 // 0000000080E8: 685E092F
	v_add_u32_e32 v48, v48, v4                                 // 0000000080EC: 68600930
	v_add_u32_e32 v49, v49, v4                                 // 0000000080F0: 68620931
	v_add_u32_e32 v50, v50, v4                                 // 0000000080F4: 68640932
	v_add_u32_e32 v51, v51, v4                                 // 0000000080F8: 68660933
	s_waitcnt lgkmcnt(0)                                       // 0000000080FC: BF8CC07F
	s_barrier                                                  // 000000008100: BF8A0000
	ds_read_b32 v56, v21                                       // 000000008104: D86C0000 38000015
	ds_read_b32 v57, v21 offset:64                             // 00000000810C: D86C0040 39000015
	ds_read_b32 v60, v21 offset:2176                           // 000000008114: D86C0880 3C000015
	ds_read_b32 v61, v21 offset:2240                           // 00000000811C: D86C08C0 3D000015
	ds_read_b32 v64, v21 offset:4352                           // 000000008124: D86C1100 40000015
	ds_read_b32 v65, v21 offset:4416                           // 00000000812C: D86C1140 41000015
	ds_read_b32 v68, v21 offset:6528                           // 000000008134: D86C1980 44000015
	ds_read_b32 v69, v21 offset:6592                           // 00000000813C: D86C19C0 45000015
	ds_read_b32 v72, v21 offset:8704                           // 000000008144: D86C2200 48000015
	ds_read_b32 v73, v21 offset:8768                           // 00000000814C: D86C2240 49000015
	ds_read_b32 v76, v21 offset:10880                          // 000000008154: D86C2A80 4C000015
	ds_read_b32 v77, v21 offset:10944                          // 00000000815C: D86C2AC0 4D000015
	ds_read_b32 v80, v21 offset:13056                          // 000000008164: D86C3300 50000015
	ds_read_b32 v81, v21 offset:13120                          // 00000000816C: D86C3340 51000015
	ds_read_b32 v84, v21 offset:15232                          // 000000008174: D86C3B80 54000015
	ds_read_b32 v85, v21 offset:15296                          // 00000000817C: D86C3BC0 55000015
	s_waitcnt lgkmcnt(0)                                       // 000000008184: BF8CC07F
	s_mov_b32 s36, -1                                          // 000000008188: BEA400C1
	s_mov_b32 s37, -1                                          // 00000000818C: BEA500C1
	v_mov_b32_e32 v7, 0                                        // 000000008190: 7E0E0280
	s_mov_b64 exec, s[36:37]                                   // 000000008194: BEFE0124
	v_mov_b32_e32 v6, v44                                      // 000000008198: 7E0C032C
	s_mov_b64 s[60:61], 0                                      // 00000000819C: BEBC0180
	v_readlane_b32 s82, v3, 0                                  // 0000000081A0: D2890052 00010103
	s_and_b32 s82, s82, 0xffffff                               // 0000000081A8: 8652FF52 00FFFFFF
	s_cmp_lt_u32 s82, s66                                      // 0000000081B0: BF0A4252
	s_cselect_b32 s20, s36, s60                                // 0000000081B4: 85143C24
	v_readlane_b32 s82, v3, 1                                  // 0000000081B8: D2890052 00010303
	s_and_b32 s82, s82, 0xffffff                               // 0000000081C0: 8652FF52 00FFFFFF
	s_cmp_lt_u32 s82, s66                                      // 0000000081C8: BF0A4252
	s_cselect_b32 s21, s36, s60                                // 0000000081CC: 85153C24
	s_mov_b64 exec, s[20:21]                                   // 0000000081D0: BEFE0114
	global_atomic_add_f32 v6, v56, s[8:9]                      // 0000000081D4: DD348000 00083806
	global_atomic_add_f32 v6, v60, s[8:9] offset:256           // 0000000081DC: DD348100 00083C06
	s_mov_b64 exec, s[36:37]                                   // 0000000081E4: BEFE0124
	v_mov_b32_e32 v6, v45                                      // 0000000081E8: 7E0C032D
	s_mov_b64 s[60:61], 0                                      // 0000000081EC: BEBC0180
	v_readlane_b32 s82, v3, 2                                  // 0000000081F0: D2890052 00010503
	s_and_b32 s82, s82, 0xffffff                               // 0000000081F8: 8652FF52 00FFFFFF
	s_cmp_lt_u32 s82, s66                                      // 000000008200: BF0A4252
	s_cselect_b32 s20, s36, s60                                // 000000008204: 85143C24
	v_readlane_b32 s82, v3, 3                                  // 000000008208: D2890052 00010703
	s_and_b32 s82, s82, 0xffffff                               // 000000008210: 8652FF52 00FFFFFF
	s_cmp_lt_u32 s82, s66                                      // 000000008218: BF0A4252
	s_cselect_b32 s21, s36, s60                                // 00000000821C: 85153C24
	s_mov_b64 exec, s[20:21]                                   // 000000008220: BEFE0114
	global_atomic_add_f32 v6, v57, s[8:9]                      // 000000008224: DD348000 00083906
	global_atomic_add_f32 v6, v61, s[8:9] offset:256           // 00000000822C: DD348100 00083D06
	s_mov_b64 exec, s[36:37]                                   // 000000008234: BEFE0124
	v_mov_b32_e32 v6, v46                                      // 000000008238: 7E0C032E
	s_mov_b64 s[60:61], 0                                      // 00000000823C: BEBC0180
	v_readlane_b32 s82, v3, 4                                  // 000000008240: D2890052 00010903
	s_and_b32 s82, s82, 0xffffff                               // 000000008248: 8652FF52 00FFFFFF
	s_cmp_lt_u32 s82, s66                                      // 000000008250: BF0A4252
	s_cselect_b32 s20, s36, s60                                // 000000008254: 85143C24
	v_readlane_b32 s82, v3, 5                                  // 000000008258: D2890052 00010B03
	s_and_b32 s82, s82, 0xffffff                               // 000000008260: 8652FF52 00FFFFFF
	s_cmp_lt_u32 s82, s66                                      // 000000008268: BF0A4252
	s_cselect_b32 s21, s36, s60                                // 00000000826C: 85153C24
	s_mov_b64 exec, s[20:21]                                   // 000000008270: BEFE0114
	global_atomic_add_f32 v6, v64, s[8:9]                      // 000000008274: DD348000 00084006
	global_atomic_add_f32 v6, v68, s[8:9] offset:256           // 00000000827C: DD348100 00084406
	s_mov_b64 exec, s[36:37]                                   // 000000008284: BEFE0124
	v_mov_b32_e32 v6, v47                                      // 000000008288: 7E0C032F
	s_mov_b64 s[60:61], 0                                      // 00000000828C: BEBC0180
	v_readlane_b32 s82, v3, 6                                  // 000000008290: D2890052 00010D03
	s_and_b32 s82, s82, 0xffffff                               // 000000008298: 8652FF52 00FFFFFF
	s_cmp_lt_u32 s82, s66                                      // 0000000082A0: BF0A4252
	s_cselect_b32 s20, s36, s60                                // 0000000082A4: 85143C24
	v_readlane_b32 s82, v3, 7                                  // 0000000082A8: D2890052 00010F03
	s_and_b32 s82, s82, 0xffffff                               // 0000000082B0: 8652FF52 00FFFFFF
	s_cmp_lt_u32 s82, s66                                      // 0000000082B8: BF0A4252
	s_cselect_b32 s21, s36, s60                                // 0000000082BC: 85153C24
	s_mov_b64 exec, s[20:21]                                   // 0000000082C0: BEFE0114
	global_atomic_add_f32 v6, v65, s[8:9]                      // 0000000082C4: DD348000 00084106
	global_atomic_add_f32 v6, v69, s[8:9] offset:256           // 0000000082CC: DD348100 00084506
	s_mov_b64 exec, s[36:37]                                   // 0000000082D4: BEFE0124
	v_mov_b32_e32 v6, v48                                      // 0000000082D8: 7E0C0330
	s_mov_b64 s[60:61], 0                                      // 0000000082DC: BEBC0180
	v_readlane_b32 s82, v3, 8                                  // 0000000082E0: D2890052 00011103
	s_and_b32 s82, s82, 0xffffff                               // 0000000082E8: 8652FF52 00FFFFFF
	s_cmp_lt_u32 s82, s66                                      // 0000000082F0: BF0A4252
	s_cselect_b32 s20, s36, s60                                // 0000000082F4: 85143C24
	v_readlane_b32 s82, v3, 9                                  // 0000000082F8: D2890052 00011303
	s_and_b32 s82, s82, 0xffffff                               // 000000008300: 8652FF52 00FFFFFF
	s_cmp_lt_u32 s82, s66                                      // 000000008308: BF0A4252
	s_cselect_b32 s21, s36, s60                                // 00000000830C: 85153C24
	s_mov_b64 exec, s[20:21]                                   // 000000008310: BEFE0114
	global_atomic_add_f32 v6, v72, s[8:9]                      // 000000008314: DD348000 00084806
	global_atomic_add_f32 v6, v76, s[8:9] offset:256           // 00000000831C: DD348100 00084C06
	s_mov_b64 exec, s[36:37]                                   // 000000008324: BEFE0124
	v_mov_b32_e32 v6, v49                                      // 000000008328: 7E0C0331
	s_mov_b64 s[60:61], 0                                      // 00000000832C: BEBC0180
	v_readlane_b32 s82, v3, 10                                 // 000000008330: D2890052 00011503
	s_and_b32 s82, s82, 0xffffff                               // 000000008338: 8652FF52 00FFFFFF
	s_cmp_lt_u32 s82, s66                                      // 000000008340: BF0A4252
	s_cselect_b32 s20, s36, s60                                // 000000008344: 85143C24
	v_readlane_b32 s82, v3, 11                                 // 000000008348: D2890052 00011703
	s_and_b32 s82, s82, 0xffffff                               // 000000008350: 8652FF52 00FFFFFF
	s_cmp_lt_u32 s82, s66                                      // 000000008358: BF0A4252
	s_cselect_b32 s21, s36, s60                                // 00000000835C: 85153C24
	s_mov_b64 exec, s[20:21]                                   // 000000008360: BEFE0114
	global_atomic_add_f32 v6, v73, s[8:9]                      // 000000008364: DD348000 00084906
	global_atomic_add_f32 v6, v77, s[8:9] offset:256           // 00000000836C: DD348100 00084D06
	s_mov_b64 exec, s[36:37]                                   // 000000008374: BEFE0124
	v_mov_b32_e32 v6, v50                                      // 000000008378: 7E0C0332
	s_mov_b64 s[60:61], 0                                      // 00000000837C: BEBC0180
	v_readlane_b32 s82, v3, 12                                 // 000000008380: D2890052 00011903
	s_and_b32 s82, s82, 0xffffff                               // 000000008388: 8652FF52 00FFFFFF
	s_cmp_lt_u32 s82, s66                                      // 000000008390: BF0A4252
	s_cselect_b32 s20, s36, s60                                // 000000008394: 85143C24
	v_readlane_b32 s82, v3, 13                                 // 000000008398: D2890052 00011B03
	s_and_b32 s82, s82, 0xffffff                               // 0000000083A0: 8652FF52 00FFFFFF
	s_cmp_lt_u32 s82, s66                                      // 0000000083A8: BF0A4252
	s_cselect_b32 s21, s36, s60                                // 0000000083AC: 85153C24
	s_mov_b64 exec, s[20:21]                                   // 0000000083B0: BEFE0114
	global_atomic_add_f32 v6, v80, s[8:9]                      // 0000000083B4: DD348000 00085006
	global_atomic_add_f32 v6, v84, s[8:9] offset:256           // 0000000083BC: DD348100 00085406
	s_mov_b64 exec, s[36:37]                                   // 0000000083C4: BEFE0124
	v_mov_b32_e32 v6, v51                                      // 0000000083C8: 7E0C0333
	s_mov_b64 s[60:61], 0                                      // 0000000083CC: BEBC0180
	v_readlane_b32 s82, v3, 14                                 // 0000000083D0: D2890052 00011D03
	s_and_b32 s82, s82, 0xffffff                               // 0000000083D8: 8652FF52 00FFFFFF
	s_cmp_lt_u32 s82, s66                                      // 0000000083E0: BF0A4252
	s_cselect_b32 s20, s36, s60                                // 0000000083E4: 85143C24
	v_readlane_b32 s82, v3, 15                                 // 0000000083E8: D2890052 00011F03
	s_and_b32 s82, s82, 0xffffff                               // 0000000083F0: 8652FF52 00FFFFFF
	s_cmp_lt_u32 s82, s66                                      // 0000000083F8: BF0A4252
	s_cselect_b32 s21, s36, s60                                // 0000000083FC: 85153C24
	s_mov_b64 exec, s[20:21]                                   // 000000008400: BEFE0114
	global_atomic_add_f32 v6, v81, s[8:9]                      // 000000008404: DD348000 00085106
	global_atomic_add_f32 v6, v85, s[8:9] offset:256           // 00000000840C: DD348100 00085506
	s_mov_b64 exec, s[36:37]                                   // 000000008414: BEFE0124
	ds_write_b64 v20, v[58:59]                                 // 000000008418: D89A0000 00003A14
	ds_write_b64 v20, v[62:63] offset:4352                     // 000000008420: D89A1100 00003E14
	ds_write_b64 v20, v[66:67] offset:8704                     // 000000008428: D89A2200 00004214
	ds_write_b64 v20, v[70:71] offset:13056                    // 000000008430: D89A3300 00004614
	ds_write_b64 v20, v[74:75] offset:2176                     // 000000008438: D89A0880 00004A14
	ds_write_b64 v20, v[78:79] offset:6528                     // 000000008440: D89A1980 00004E14
	ds_write_b64 v20, v[82:83] offset:10880                    // 000000008448: D89A2A80 00005214
	ds_write_b64 v20, v[86:87] offset:15232                    // 000000008450: D89A3B80 00005614
	s_waitcnt lgkmcnt(0)                                       // 000000008458: BF8CC07F
	s_barrier                                                  // 00000000845C: BF8A0000
	ds_read_b32 v58, v21                                       // 000000008460: D86C0000 3A000015
	ds_read_b32 v59, v21 offset:64                             // 000000008468: D86C0040 3B000015
	ds_read_b32 v62, v21 offset:2176                           // 000000008470: D86C0880 3E000015
	ds_read_b32 v63, v21 offset:2240                           // 000000008478: D86C08C0 3F000015
	ds_read_b32 v66, v21 offset:4352                           // 000000008480: D86C1100 42000015
	ds_read_b32 v67, v21 offset:4416                           // 000000008488: D86C1140 43000015
	ds_read_b32 v70, v21 offset:6528                           // 000000008490: D86C1980 46000015
	ds_read_b32 v71, v21 offset:6592                           // 000000008498: D86C19C0 47000015
	ds_read_b32 v74, v21 offset:8704                           // 0000000084A0: D86C2200 4A000015
	ds_read_b32 v75, v21 offset:8768                           // 0000000084A8: D86C2240 4B000015
	ds_read_b32 v78, v21 offset:10880                          // 0000000084B0: D86C2A80 4E000015
	ds_read_b32 v79, v21 offset:10944                          // 0000000084B8: D86C2AC0 4F000015
	ds_read_b32 v82, v21 offset:13056                          // 0000000084C0: D86C3300 52000015
	ds_read_b32 v83, v21 offset:13120                          // 0000000084C8: D86C3340 53000015
	ds_read_b32 v86, v21 offset:15232                          // 0000000084D0: D86C3B80 56000015
	ds_read_b32 v87, v21 offset:15296                          // 0000000084D8: D86C3BC0 57000015
	s_waitcnt lgkmcnt(0)                                       // 0000000084E0: BF8CC07F
	v_mov_b32_e32 v7, 0                                        // 0000000084E4: 7E0E0280
	s_mov_b64 exec, s[36:37]                                   // 0000000084E8: BEFE0124
	v_mov_b32_e32 v6, v44                                      // 0000000084EC: 7E0C032C
	s_mov_b64 s[60:61], 0                                      // 0000000084F0: BEBC0180
	v_readlane_b32 s82, v3, 0                                  // 0000000084F4: D2890052 00010103
	s_and_b32 s82, s82, 0xffffff                               // 0000000084FC: 8652FF52 00FFFFFF
	s_cmp_lt_u32 s82, s66                                      // 000000008504: BF0A4252
	s_cselect_b32 s20, s36, s60                                // 000000008508: 85143C24
	v_readlane_b32 s82, v3, 1                                  // 00000000850C: D2890052 00010303
	s_and_b32 s82, s82, 0xffffff                               // 000000008514: 8652FF52 00FFFFFF
	s_cmp_lt_u32 s82, s66                                      // 00000000851C: BF0A4252
	s_cselect_b32 s21, s36, s60                                // 000000008520: 85153C24
	s_mov_b64 exec, s[20:21]                                   // 000000008524: BEFE0114
	global_atomic_add_f32 v6, v58, s[8:9] offset:8             // 000000008528: DD348008 00083A06
	global_atomic_add_f32 v6, v62, s[8:9] offset:264           // 000000008530: DD348108 00083E06
	s_mov_b64 exec, s[36:37]                                   // 000000008538: BEFE0124
	v_mov_b32_e32 v6, v45                                      // 00000000853C: 7E0C032D
	s_mov_b64 s[60:61], 0                                      // 000000008540: BEBC0180
	v_readlane_b32 s82, v3, 2                                  // 000000008544: D2890052 00010503
	s_and_b32 s82, s82, 0xffffff                               // 00000000854C: 8652FF52 00FFFFFF
	s_cmp_lt_u32 s82, s66                                      // 000000008554: BF0A4252
	s_cselect_b32 s20, s36, s60                                // 000000008558: 85143C24
	v_readlane_b32 s82, v3, 3                                  // 00000000855C: D2890052 00010703
	s_and_b32 s82, s82, 0xffffff                               // 000000008564: 8652FF52 00FFFFFF
	s_cmp_lt_u32 s82, s66                                      // 00000000856C: BF0A4252
	s_cselect_b32 s21, s36, s60                                // 000000008570: 85153C24
	s_mov_b64 exec, s[20:21]                                   // 000000008574: BEFE0114
	global_atomic_add_f32 v6, v59, s[8:9] offset:8             // 000000008578: DD348008 00083B06
	global_atomic_add_f32 v6, v63, s[8:9] offset:264           // 000000008580: DD348108 00083F06
	s_mov_b64 exec, s[36:37]                                   // 000000008588: BEFE0124
	v_mov_b32_e32 v6, v46                                      // 00000000858C: 7E0C032E
	s_mov_b64 s[60:61], 0                                      // 000000008590: BEBC0180
	v_readlane_b32 s82, v3, 4                                  // 000000008594: D2890052 00010903
	s_and_b32 s82, s82, 0xffffff                               // 00000000859C: 8652FF52 00FFFFFF
	s_cmp_lt_u32 s82, s66                                      // 0000000085A4: BF0A4252
	s_cselect_b32 s20, s36, s60                                // 0000000085A8: 85143C24
	v_readlane_b32 s82, v3, 5                                  // 0000000085AC: D2890052 00010B03
	s_and_b32 s82, s82, 0xffffff                               // 0000000085B4: 8652FF52 00FFFFFF
	s_cmp_lt_u32 s82, s66                                      // 0000000085BC: BF0A4252
	s_cselect_b32 s21, s36, s60                                // 0000000085C0: 85153C24
	s_mov_b64 exec, s[20:21]                                   // 0000000085C4: BEFE0114
	global_atomic_add_f32 v6, v66, s[8:9] offset:8             // 0000000085C8: DD348008 00084206
	global_atomic_add_f32 v6, v70, s[8:9] offset:264           // 0000000085D0: DD348108 00084606
	s_mov_b64 exec, s[36:37]                                   // 0000000085D8: BEFE0124
	v_mov_b32_e32 v6, v47                                      // 0000000085DC: 7E0C032F
	s_mov_b64 s[60:61], 0                                      // 0000000085E0: BEBC0180
	v_readlane_b32 s82, v3, 6                                  // 0000000085E4: D2890052 00010D03
	s_and_b32 s82, s82, 0xffffff                               // 0000000085EC: 8652FF52 00FFFFFF
	s_cmp_lt_u32 s82, s66                                      // 0000000085F4: BF0A4252
	s_cselect_b32 s20, s36, s60                                // 0000000085F8: 85143C24
	v_readlane_b32 s82, v3, 7                                  // 0000000085FC: D2890052 00010F03
	s_and_b32 s82, s82, 0xffffff                               // 000000008604: 8652FF52 00FFFFFF
	s_cmp_lt_u32 s82, s66                                      // 00000000860C: BF0A4252
	s_cselect_b32 s21, s36, s60                                // 000000008610: 85153C24
	s_mov_b64 exec, s[20:21]                                   // 000000008614: BEFE0114
	global_atomic_add_f32 v6, v67, s[8:9] offset:8             // 000000008618: DD348008 00084306
	global_atomic_add_f32 v6, v71, s[8:9] offset:264           // 000000008620: DD348108 00084706
	s_mov_b64 exec, s[36:37]                                   // 000000008628: BEFE0124
	v_mov_b32_e32 v6, v48                                      // 00000000862C: 7E0C0330
	s_mov_b64 s[60:61], 0                                      // 000000008630: BEBC0180
	v_readlane_b32 s82, v3, 8                                  // 000000008634: D2890052 00011103
	s_and_b32 s82, s82, 0xffffff                               // 00000000863C: 8652FF52 00FFFFFF
	s_cmp_lt_u32 s82, s66                                      // 000000008644: BF0A4252
	s_cselect_b32 s20, s36, s60                                // 000000008648: 85143C24
	v_readlane_b32 s82, v3, 9                                  // 00000000864C: D2890052 00011303
	s_and_b32 s82, s82, 0xffffff                               // 000000008654: 8652FF52 00FFFFFF
	s_cmp_lt_u32 s82, s66                                      // 00000000865C: BF0A4252
	s_cselect_b32 s21, s36, s60                                // 000000008660: 85153C24
	s_mov_b64 exec, s[20:21]                                   // 000000008664: BEFE0114
	global_atomic_add_f32 v6, v74, s[8:9] offset:8             // 000000008668: DD348008 00084A06
	global_atomic_add_f32 v6, v78, s[8:9] offset:264           // 000000008670: DD348108 00084E06
	s_mov_b64 exec, s[36:37]                                   // 000000008678: BEFE0124
	v_mov_b32_e32 v6, v49                                      // 00000000867C: 7E0C0331
	s_mov_b64 s[60:61], 0                                      // 000000008680: BEBC0180
	v_readlane_b32 s82, v3, 10                                 // 000000008684: D2890052 00011503
	s_and_b32 s82, s82, 0xffffff                               // 00000000868C: 8652FF52 00FFFFFF
	s_cmp_lt_u32 s82, s66                                      // 000000008694: BF0A4252
	s_cselect_b32 s20, s36, s60                                // 000000008698: 85143C24
	v_readlane_b32 s82, v3, 11                                 // 00000000869C: D2890052 00011703
	s_and_b32 s82, s82, 0xffffff                               // 0000000086A4: 8652FF52 00FFFFFF
	s_cmp_lt_u32 s82, s66                                      // 0000000086AC: BF0A4252
	s_cselect_b32 s21, s36, s60                                // 0000000086B0: 85153C24
	s_mov_b64 exec, s[20:21]                                   // 0000000086B4: BEFE0114
	global_atomic_add_f32 v6, v75, s[8:9] offset:8             // 0000000086B8: DD348008 00084B06
	global_atomic_add_f32 v6, v79, s[8:9] offset:264           // 0000000086C0: DD348108 00084F06
	s_mov_b64 exec, s[36:37]                                   // 0000000086C8: BEFE0124
	v_mov_b32_e32 v6, v50                                      // 0000000086CC: 7E0C0332
	s_mov_b64 s[60:61], 0                                      // 0000000086D0: BEBC0180
	v_readlane_b32 s82, v3, 12                                 // 0000000086D4: D2890052 00011903
	s_and_b32 s82, s82, 0xffffff                               // 0000000086DC: 8652FF52 00FFFFFF
	s_cmp_lt_u32 s82, s66                                      // 0000000086E4: BF0A4252
	s_cselect_b32 s20, s36, s60                                // 0000000086E8: 85143C24
	v_readlane_b32 s82, v3, 13                                 // 0000000086EC: D2890052 00011B03
	s_and_b32 s82, s82, 0xffffff                               // 0000000086F4: 8652FF52 00FFFFFF
	s_cmp_lt_u32 s82, s66                                      // 0000000086FC: BF0A4252
	s_cselect_b32 s21, s36, s60                                // 000000008700: 85153C24
	s_mov_b64 exec, s[20:21]                                   // 000000008704: BEFE0114
	global_atomic_add_f32 v6, v82, s[8:9] offset:8             // 000000008708: DD348008 00085206
	global_atomic_add_f32 v6, v86, s[8:9] offset:264           // 000000008710: DD348108 00085606
	s_mov_b64 exec, s[36:37]                                   // 000000008718: BEFE0124
	v_mov_b32_e32 v6, v51                                      // 00000000871C: 7E0C0333
	s_mov_b64 s[60:61], 0                                      // 000000008720: BEBC0180
	v_readlane_b32 s82, v3, 14                                 // 000000008724: D2890052 00011D03
	s_and_b32 s82, s82, 0xffffff                               // 00000000872C: 8652FF52 00FFFFFF
	s_cmp_lt_u32 s82, s66                                      // 000000008734: BF0A4252
	s_cselect_b32 s20, s36, s60                                // 000000008738: 85143C24
	v_readlane_b32 s82, v3, 15                                 // 00000000873C: D2890052 00011F03
	s_and_b32 s82, s82, 0xffffff                               // 000000008744: 8652FF52 00FFFFFF
	s_cmp_lt_u32 s82, s66                                      // 00000000874C: BF0A4252
	s_cselect_b32 s21, s36, s60                                // 000000008750: 85153C24
	s_mov_b64 exec, s[20:21]                                   // 000000008754: BEFE0114
	global_atomic_add_f32 v6, v83, s[8:9] offset:8             // 000000008758: DD348008 00085306
	global_atomic_add_f32 v6, v87, s[8:9] offset:264           // 000000008760: DD348108 00085706
	s_mov_b64 exec, s[36:37]                                   // 000000008768: BEFE0124
	ds_write_b64 v20, v[88:89]                                 // 00000000876C: D89A0000 00005814
	ds_write_b64 v20, v[92:93] offset:4352                     // 000000008774: D89A1100 00005C14
	ds_write_b64 v20, v[96:97] offset:8704                     // 00000000877C: D89A2200 00006014
	ds_write_b64 v20, v[100:101] offset:13056                  // 000000008784: D89A3300 00006414
	ds_write_b64 v20, v[104:105] offset:2176                   // 00000000878C: D89A0880 00006814
	ds_write_b64 v20, v[108:109] offset:6528                   // 000000008794: D89A1980 00006C14
	ds_write_b64 v20, v[112:113] offset:10880                  // 00000000879C: D89A2A80 00007014
	ds_write_b64 v20, v[116:117] offset:15232                  // 0000000087A4: D89A3B80 00007414
	s_waitcnt lgkmcnt(0)                                       // 0000000087AC: BF8CC07F
	s_barrier                                                  // 0000000087B0: BF8A0000
	ds_read_b32 v88, v21                                       // 0000000087B4: D86C0000 58000015
	ds_read_b32 v89, v21 offset:64                             // 0000000087BC: D86C0040 59000015
	ds_read_b32 v92, v21 offset:2176                           // 0000000087C4: D86C0880 5C000015
	ds_read_b32 v93, v21 offset:2240                           // 0000000087CC: D86C08C0 5D000015
	ds_read_b32 v96, v21 offset:4352                           // 0000000087D4: D86C1100 60000015
	ds_read_b32 v97, v21 offset:4416                           // 0000000087DC: D86C1140 61000015
	ds_read_b32 v100, v21 offset:6528                          // 0000000087E4: D86C1980 64000015
	ds_read_b32 v101, v21 offset:6592                          // 0000000087EC: D86C19C0 65000015
	ds_read_b32 v104, v21 offset:8704                          // 0000000087F4: D86C2200 68000015
	ds_read_b32 v105, v21 offset:8768                          // 0000000087FC: D86C2240 69000015
	ds_read_b32 v108, v21 offset:10880                         // 000000008804: D86C2A80 6C000015
	ds_read_b32 v109, v21 offset:10944                         // 00000000880C: D86C2AC0 6D000015
	ds_read_b32 v112, v21 offset:13056                         // 000000008814: D86C3300 70000015
	ds_read_b32 v113, v21 offset:13120                         // 00000000881C: D86C3340 71000015
	ds_read_b32 v116, v21 offset:15232                         // 000000008824: D86C3B80 74000015
	ds_read_b32 v117, v21 offset:15296                         // 00000000882C: D86C3BC0 75000015
	s_mul_i32 s60, s65, 4                                      // 000000008834: 923C8441
	s_add_u32 s8, s60, s8                                      // 000000008838: 8008083C
	s_addc_u32 s9, 0, s9                                       // 00000000883C: 82090980
	s_waitcnt lgkmcnt(0)                                       // 000000008840: BF8CC07F
	v_mov_b32_e32 v7, 0                                        // 000000008844: 7E0E0280
	s_mov_b64 exec, s[36:37]                                   // 000000008848: BEFE0124
	v_mov_b32_e32 v6, v44                                      // 00000000884C: 7E0C032C
	s_mov_b64 s[60:61], 0                                      // 000000008850: BEBC0180
	v_readlane_b32 s82, v3, 0                                  // 000000008854: D2890052 00010103
	s_and_b32 s82, s82, 0xffffff                               // 00000000885C: 8652FF52 00FFFFFF
	s_cmp_lt_u32 s82, s66                                      // 000000008864: BF0A4252
	s_cselect_b32 s20, s36, s60                                // 000000008868: 85143C24
	v_readlane_b32 s82, v3, 1                                  // 00000000886C: D2890052 00010303
	s_and_b32 s82, s82, 0xffffff                               // 000000008874: 8652FF52 00FFFFFF
	s_cmp_lt_u32 s82, s66                                      // 00000000887C: BF0A4252
	s_cselect_b32 s21, s36, s60                                // 000000008880: 85153C24
	s_mov_b64 exec, s[20:21]                                   // 000000008884: BEFE0114
	global_atomic_add_f32 v6, v88, s[8:9]                      // 000000008888: DD348000 00085806
	global_atomic_add_f32 v6, v92, s[8:9] offset:256           // 000000008890: DD348100 00085C06
	s_mov_b64 exec, s[36:37]                                   // 000000008898: BEFE0124
	v_mov_b32_e32 v6, v45                                      // 00000000889C: 7E0C032D
	s_mov_b64 s[60:61], 0                                      // 0000000088A0: BEBC0180
	v_readlane_b32 s82, v3, 2                                  // 0000000088A4: D2890052 00010503
	s_and_b32 s82, s82, 0xffffff                               // 0000000088AC: 8652FF52 00FFFFFF
	s_cmp_lt_u32 s82, s66                                      // 0000000088B4: BF0A4252
	s_cselect_b32 s20, s36, s60                                // 0000000088B8: 85143C24
	v_readlane_b32 s82, v3, 3                                  // 0000000088BC: D2890052 00010703
	s_and_b32 s82, s82, 0xffffff                               // 0000000088C4: 8652FF52 00FFFFFF
	s_cmp_lt_u32 s82, s66                                      // 0000000088CC: BF0A4252
	s_cselect_b32 s21, s36, s60                                // 0000000088D0: 85153C24
	s_mov_b64 exec, s[20:21]                                   // 0000000088D4: BEFE0114
	global_atomic_add_f32 v6, v89, s[8:9]                      // 0000000088D8: DD348000 00085906
	global_atomic_add_f32 v6, v93, s[8:9] offset:256           // 0000000088E0: DD348100 00085D06
	s_mov_b64 exec, s[36:37]                                   // 0000000088E8: BEFE0124
	v_mov_b32_e32 v6, v46                                      // 0000000088EC: 7E0C032E
	s_mov_b64 s[60:61], 0                                      // 0000000088F0: BEBC0180
	v_readlane_b32 s82, v3, 4                                  // 0000000088F4: D2890052 00010903
	s_and_b32 s82, s82, 0xffffff                               // 0000000088FC: 8652FF52 00FFFFFF
	s_cmp_lt_u32 s82, s66                                      // 000000008904: BF0A4252
	s_cselect_b32 s20, s36, s60                                // 000000008908: 85143C24
	v_readlane_b32 s82, v3, 5                                  // 00000000890C: D2890052 00010B03
	s_and_b32 s82, s82, 0xffffff                               // 000000008914: 8652FF52 00FFFFFF
	s_cmp_lt_u32 s82, s66                                      // 00000000891C: BF0A4252
	s_cselect_b32 s21, s36, s60                                // 000000008920: 85153C24
	s_mov_b64 exec, s[20:21]                                   // 000000008924: BEFE0114
	global_atomic_add_f32 v6, v96, s[8:9]                      // 000000008928: DD348000 00086006
	global_atomic_add_f32 v6, v100, s[8:9] offset:256          // 000000008930: DD348100 00086406
	s_mov_b64 exec, s[36:37]                                   // 000000008938: BEFE0124
	v_mov_b32_e32 v6, v47                                      // 00000000893C: 7E0C032F
	s_mov_b64 s[60:61], 0                                      // 000000008940: BEBC0180
	v_readlane_b32 s82, v3, 6                                  // 000000008944: D2890052 00010D03
	s_and_b32 s82, s82, 0xffffff                               // 00000000894C: 8652FF52 00FFFFFF
	s_cmp_lt_u32 s82, s66                                      // 000000008954: BF0A4252
	s_cselect_b32 s20, s36, s60                                // 000000008958: 85143C24
	v_readlane_b32 s82, v3, 7                                  // 00000000895C: D2890052 00010F03
	s_and_b32 s82, s82, 0xffffff                               // 000000008964: 8652FF52 00FFFFFF
	s_cmp_lt_u32 s82, s66                                      // 00000000896C: BF0A4252
	s_cselect_b32 s21, s36, s60                                // 000000008970: 85153C24
	s_mov_b64 exec, s[20:21]                                   // 000000008974: BEFE0114
	global_atomic_add_f32 v6, v97, s[8:9]                      // 000000008978: DD348000 00086106
	global_atomic_add_f32 v6, v101, s[8:9] offset:256          // 000000008980: DD348100 00086506
	s_mov_b64 exec, s[36:37]                                   // 000000008988: BEFE0124
	v_mov_b32_e32 v6, v48                                      // 00000000898C: 7E0C0330
	s_mov_b64 s[60:61], 0                                      // 000000008990: BEBC0180
	v_readlane_b32 s82, v3, 8                                  // 000000008994: D2890052 00011103
	s_and_b32 s82, s82, 0xffffff                               // 00000000899C: 8652FF52 00FFFFFF
	s_cmp_lt_u32 s82, s66                                      // 0000000089A4: BF0A4252
	s_cselect_b32 s20, s36, s60                                // 0000000089A8: 85143C24
	v_readlane_b32 s82, v3, 9                                  // 0000000089AC: D2890052 00011303
	s_and_b32 s82, s82, 0xffffff                               // 0000000089B4: 8652FF52 00FFFFFF
	s_cmp_lt_u32 s82, s66                                      // 0000000089BC: BF0A4252
	s_cselect_b32 s21, s36, s60                                // 0000000089C0: 85153C24
	s_mov_b64 exec, s[20:21]                                   // 0000000089C4: BEFE0114
	global_atomic_add_f32 v6, v104, s[8:9]                     // 0000000089C8: DD348000 00086806
	global_atomic_add_f32 v6, v108, s[8:9] offset:256          // 0000000089D0: DD348100 00086C06
	s_mov_b64 exec, s[36:37]                                   // 0000000089D8: BEFE0124
	v_mov_b32_e32 v6, v49                                      // 0000000089DC: 7E0C0331
	s_mov_b64 s[60:61], 0                                      // 0000000089E0: BEBC0180
	v_readlane_b32 s82, v3, 10                                 // 0000000089E4: D2890052 00011503
	s_and_b32 s82, s82, 0xffffff                               // 0000000089EC: 8652FF52 00FFFFFF
	s_cmp_lt_u32 s82, s66                                      // 0000000089F4: BF0A4252
	s_cselect_b32 s20, s36, s60                                // 0000000089F8: 85143C24
	v_readlane_b32 s82, v3, 11                                 // 0000000089FC: D2890052 00011703
	s_and_b32 s82, s82, 0xffffff                               // 000000008A04: 8652FF52 00FFFFFF
	s_cmp_lt_u32 s82, s66                                      // 000000008A0C: BF0A4252
	s_cselect_b32 s21, s36, s60                                // 000000008A10: 85153C24
	s_mov_b64 exec, s[20:21]                                   // 000000008A14: BEFE0114
	global_atomic_add_f32 v6, v105, s[8:9]                     // 000000008A18: DD348000 00086906
	global_atomic_add_f32 v6, v109, s[8:9] offset:256          // 000000008A20: DD348100 00086D06
	s_mov_b64 exec, s[36:37]                                   // 000000008A28: BEFE0124
	v_mov_b32_e32 v6, v50                                      // 000000008A2C: 7E0C0332
	s_mov_b64 s[60:61], 0                                      // 000000008A30: BEBC0180
	v_readlane_b32 s82, v3, 12                                 // 000000008A34: D2890052 00011903
	s_and_b32 s82, s82, 0xffffff                               // 000000008A3C: 8652FF52 00FFFFFF
	s_cmp_lt_u32 s82, s66                                      // 000000008A44: BF0A4252
	s_cselect_b32 s20, s36, s60                                // 000000008A48: 85143C24
	v_readlane_b32 s82, v3, 13                                 // 000000008A4C: D2890052 00011B03
	s_and_b32 s82, s82, 0xffffff                               // 000000008A54: 8652FF52 00FFFFFF
	s_cmp_lt_u32 s82, s66                                      // 000000008A5C: BF0A4252
	s_cselect_b32 s21, s36, s60                                // 000000008A60: 85153C24
	s_mov_b64 exec, s[20:21]                                   // 000000008A64: BEFE0114
	global_atomic_add_f32 v6, v112, s[8:9]                     // 000000008A68: DD348000 00087006
	global_atomic_add_f32 v6, v116, s[8:9] offset:256          // 000000008A70: DD348100 00087406
	s_mov_b64 exec, s[36:37]                                   // 000000008A78: BEFE0124
	v_mov_b32_e32 v6, v51                                      // 000000008A7C: 7E0C0333
	s_mov_b64 s[60:61], 0                                      // 000000008A80: BEBC0180
	v_readlane_b32 s82, v3, 14                                 // 000000008A84: D2890052 00011D03
	s_and_b32 s82, s82, 0xffffff                               // 000000008A8C: 8652FF52 00FFFFFF
	s_cmp_lt_u32 s82, s66                                      // 000000008A94: BF0A4252
	s_cselect_b32 s20, s36, s60                                // 000000008A98: 85143C24
	v_readlane_b32 s82, v3, 15                                 // 000000008A9C: D2890052 00011F03
	s_and_b32 s82, s82, 0xffffff                               // 000000008AA4: 8652FF52 00FFFFFF
	s_cmp_lt_u32 s82, s66                                      // 000000008AAC: BF0A4252
	s_cselect_b32 s21, s36, s60                                // 000000008AB0: 85153C24
	s_mov_b64 exec, s[20:21]                                   // 000000008AB4: BEFE0114
	global_atomic_add_f32 v6, v113, s[8:9]                     // 000000008AB8: DD348000 00087106
	global_atomic_add_f32 v6, v117, s[8:9] offset:256          // 000000008AC0: DD348100 00087506
	s_mov_b64 exec, s[36:37]                                   // 000000008AC8: BEFE0124
	ds_write_b64 v20, v[90:91]                                 // 000000008ACC: D89A0000 00005A14
	ds_write_b64 v20, v[94:95] offset:4352                     // 000000008AD4: D89A1100 00005E14
	ds_write_b64 v20, v[98:99] offset:8704                     // 000000008ADC: D89A2200 00006214
	ds_write_b64 v20, v[102:103] offset:13056                  // 000000008AE4: D89A3300 00006614
	ds_write_b64 v20, v[106:107] offset:2176                   // 000000008AEC: D89A0880 00006A14
	ds_write_b64 v20, v[110:111] offset:6528                   // 000000008AF4: D89A1980 00006E14
	ds_write_b64 v20, v[114:115] offset:10880                  // 000000008AFC: D89A2A80 00007214
	ds_write_b64 v20, v[118:119] offset:15232                  // 000000008B04: D89A3B80 00007614
	s_waitcnt lgkmcnt(0)                                       // 000000008B0C: BF8CC07F
	s_barrier                                                  // 000000008B10: BF8A0000
	ds_read_b32 v90, v21                                       // 000000008B14: D86C0000 5A000015
	ds_read_b32 v91, v21 offset:64                             // 000000008B1C: D86C0040 5B000015
	ds_read_b32 v94, v21 offset:2176                           // 000000008B24: D86C0880 5E000015
	ds_read_b32 v95, v21 offset:2240                           // 000000008B2C: D86C08C0 5F000015
	ds_read_b32 v98, v21 offset:4352                           // 000000008B34: D86C1100 62000015
	ds_read_b32 v99, v21 offset:4416                           // 000000008B3C: D86C1140 63000015
	ds_read_b32 v102, v21 offset:6528                          // 000000008B44: D86C1980 66000015
	ds_read_b32 v103, v21 offset:6592                          // 000000008B4C: D86C19C0 67000015
	ds_read_b32 v106, v21 offset:8704                          // 000000008B54: D86C2200 6A000015
	ds_read_b32 v107, v21 offset:8768                          // 000000008B5C: D86C2240 6B000015
	ds_read_b32 v110, v21 offset:10880                         // 000000008B64: D86C2A80 6E000015
	ds_read_b32 v111, v21 offset:10944                         // 000000008B6C: D86C2AC0 6F000015
	ds_read_b32 v114, v21 offset:13056                         // 000000008B74: D86C3300 72000015
	ds_read_b32 v115, v21 offset:13120                         // 000000008B7C: D86C3340 73000015
	ds_read_b32 v118, v21 offset:15232                         // 000000008B84: D86C3B80 76000015
	ds_read_b32 v119, v21 offset:15296                         // 000000008B8C: D86C3BC0 77000015
	s_waitcnt lgkmcnt(0)                                       // 000000008B94: BF8CC07F
	v_mov_b32_e32 v7, 0                                        // 000000008B98: 7E0E0280
	s_mov_b64 exec, s[36:37]                                   // 000000008B9C: BEFE0124
	v_mov_b32_e32 v6, v44                                      // 000000008BA0: 7E0C032C
	s_mov_b64 s[60:61], 0                                      // 000000008BA4: BEBC0180
	v_readlane_b32 s82, v3, 0                                  // 000000008BA8: D2890052 00010103
	s_and_b32 s82, s82, 0xffffff                               // 000000008BB0: 8652FF52 00FFFFFF
	s_cmp_lt_u32 s82, s66                                      // 000000008BB8: BF0A4252
	s_cselect_b32 s20, s36, s60                                // 000000008BBC: 85143C24
	v_readlane_b32 s82, v3, 1                                  // 000000008BC0: D2890052 00010303
	s_and_b32 s82, s82, 0xffffff                               // 000000008BC8: 8652FF52 00FFFFFF
	s_cmp_lt_u32 s82, s66                                      // 000000008BD0: BF0A4252
	s_cselect_b32 s21, s36, s60                                // 000000008BD4: 85153C24
	s_mov_b64 exec, s[20:21]                                   // 000000008BD8: BEFE0114
	global_atomic_add_f32 v6, v90, s[8:9] offset:8             // 000000008BDC: DD348008 00085A06
	global_atomic_add_f32 v6, v94, s[8:9] offset:264           // 000000008BE4: DD348108 00085E06
	s_mov_b64 exec, s[36:37]                                   // 000000008BEC: BEFE0124
	v_mov_b32_e32 v6, v45                                      // 000000008BF0: 7E0C032D
	s_mov_b64 s[60:61], 0                                      // 000000008BF4: BEBC0180
	v_readlane_b32 s82, v3, 2                                  // 000000008BF8: D2890052 00010503
	s_and_b32 s82, s82, 0xffffff                               // 000000008C00: 8652FF52 00FFFFFF
	s_cmp_lt_u32 s82, s66                                      // 000000008C08: BF0A4252
	s_cselect_b32 s20, s36, s60                                // 000000008C0C: 85143C24
	v_readlane_b32 s82, v3, 3                                  // 000000008C10: D2890052 00010703
	s_and_b32 s82, s82, 0xffffff                               // 000000008C18: 8652FF52 00FFFFFF
	s_cmp_lt_u32 s82, s66                                      // 000000008C20: BF0A4252
	s_cselect_b32 s21, s36, s60                                // 000000008C24: 85153C24
	s_mov_b64 exec, s[20:21]                                   // 000000008C28: BEFE0114
	global_atomic_add_f32 v6, v91, s[8:9] offset:8             // 000000008C2C: DD348008 00085B06
	global_atomic_add_f32 v6, v95, s[8:9] offset:264           // 000000008C34: DD348108 00085F06
	s_mov_b64 exec, s[36:37]                                   // 000000008C3C: BEFE0124
	v_mov_b32_e32 v6, v46                                      // 000000008C40: 7E0C032E
	s_mov_b64 s[60:61], 0                                      // 000000008C44: BEBC0180
	v_readlane_b32 s82, v3, 4                                  // 000000008C48: D2890052 00010903
	s_and_b32 s82, s82, 0xffffff                               // 000000008C50: 8652FF52 00FFFFFF
	s_cmp_lt_u32 s82, s66                                      // 000000008C58: BF0A4252
	s_cselect_b32 s20, s36, s60                                // 000000008C5C: 85143C24
	v_readlane_b32 s82, v3, 5                                  // 000000008C60: D2890052 00010B03
	s_and_b32 s82, s82, 0xffffff                               // 000000008C68: 8652FF52 00FFFFFF
	s_cmp_lt_u32 s82, s66                                      // 000000008C70: BF0A4252
	s_cselect_b32 s21, s36, s60                                // 000000008C74: 85153C24
	s_mov_b64 exec, s[20:21]                                   // 000000008C78: BEFE0114
	global_atomic_add_f32 v6, v98, s[8:9] offset:8             // 000000008C7C: DD348008 00086206
	global_atomic_add_f32 v6, v102, s[8:9] offset:264          // 000000008C84: DD348108 00086606
	s_mov_b64 exec, s[36:37]                                   // 000000008C8C: BEFE0124
	v_mov_b32_e32 v6, v47                                      // 000000008C90: 7E0C032F
	s_mov_b64 s[60:61], 0                                      // 000000008C94: BEBC0180
	v_readlane_b32 s82, v3, 6                                  // 000000008C98: D2890052 00010D03
	s_and_b32 s82, s82, 0xffffff                               // 000000008CA0: 8652FF52 00FFFFFF
	s_cmp_lt_u32 s82, s66                                      // 000000008CA8: BF0A4252
	s_cselect_b32 s20, s36, s60                                // 000000008CAC: 85143C24
	v_readlane_b32 s82, v3, 7                                  // 000000008CB0: D2890052 00010F03
	s_and_b32 s82, s82, 0xffffff                               // 000000008CB8: 8652FF52 00FFFFFF
	s_cmp_lt_u32 s82, s66                                      // 000000008CC0: BF0A4252
	s_cselect_b32 s21, s36, s60                                // 000000008CC4: 85153C24
	s_mov_b64 exec, s[20:21]                                   // 000000008CC8: BEFE0114
	global_atomic_add_f32 v6, v99, s[8:9] offset:8             // 000000008CCC: DD348008 00086306
	global_atomic_add_f32 v6, v103, s[8:9] offset:264          // 000000008CD4: DD348108 00086706
	s_mov_b64 exec, s[36:37]                                   // 000000008CDC: BEFE0124
	v_mov_b32_e32 v6, v48                                      // 000000008CE0: 7E0C0330
	s_mov_b64 s[60:61], 0                                      // 000000008CE4: BEBC0180
	v_readlane_b32 s82, v3, 8                                  // 000000008CE8: D2890052 00011103
	s_and_b32 s82, s82, 0xffffff                               // 000000008CF0: 8652FF52 00FFFFFF
	s_cmp_lt_u32 s82, s66                                      // 000000008CF8: BF0A4252
	s_cselect_b32 s20, s36, s60                                // 000000008CFC: 85143C24
	v_readlane_b32 s82, v3, 9                                  // 000000008D00: D2890052 00011303
	s_and_b32 s82, s82, 0xffffff                               // 000000008D08: 8652FF52 00FFFFFF
	s_cmp_lt_u32 s82, s66                                      // 000000008D10: BF0A4252
	s_cselect_b32 s21, s36, s60                                // 000000008D14: 85153C24
	s_mov_b64 exec, s[20:21]                                   // 000000008D18: BEFE0114
	global_atomic_add_f32 v6, v106, s[8:9] offset:8            // 000000008D1C: DD348008 00086A06
	global_atomic_add_f32 v6, v110, s[8:9] offset:264          // 000000008D24: DD348108 00086E06
	s_mov_b64 exec, s[36:37]                                   // 000000008D2C: BEFE0124
	v_mov_b32_e32 v6, v49                                      // 000000008D30: 7E0C0331
	s_mov_b64 s[60:61], 0                                      // 000000008D34: BEBC0180
	v_readlane_b32 s82, v3, 10                                 // 000000008D38: D2890052 00011503
	s_and_b32 s82, s82, 0xffffff                               // 000000008D40: 8652FF52 00FFFFFF
	s_cmp_lt_u32 s82, s66                                      // 000000008D48: BF0A4252
	s_cselect_b32 s20, s36, s60                                // 000000008D4C: 85143C24
	v_readlane_b32 s82, v3, 11                                 // 000000008D50: D2890052 00011703
	s_and_b32 s82, s82, 0xffffff                               // 000000008D58: 8652FF52 00FFFFFF
	s_cmp_lt_u32 s82, s66                                      // 000000008D60: BF0A4252
	s_cselect_b32 s21, s36, s60                                // 000000008D64: 85153C24
	s_mov_b64 exec, s[20:21]                                   // 000000008D68: BEFE0114
	global_atomic_add_f32 v6, v107, s[8:9] offset:8            // 000000008D6C: DD348008 00086B06
	global_atomic_add_f32 v6, v111, s[8:9] offset:264          // 000000008D74: DD348108 00086F06
	s_mov_b64 exec, s[36:37]                                   // 000000008D7C: BEFE0124
	v_mov_b32_e32 v6, v50                                      // 000000008D80: 7E0C0332
	s_mov_b64 s[60:61], 0                                      // 000000008D84: BEBC0180
	v_readlane_b32 s82, v3, 12                                 // 000000008D88: D2890052 00011903
	s_and_b32 s82, s82, 0xffffff                               // 000000008D90: 8652FF52 00FFFFFF
	s_cmp_lt_u32 s82, s66                                      // 000000008D98: BF0A4252
	s_cselect_b32 s20, s36, s60                                // 000000008D9C: 85143C24
	v_readlane_b32 s82, v3, 13                                 // 000000008DA0: D2890052 00011B03
	s_and_b32 s82, s82, 0xffffff                               // 000000008DA8: 8652FF52 00FFFFFF
	s_cmp_lt_u32 s82, s66                                      // 000000008DB0: BF0A4252
	s_cselect_b32 s21, s36, s60                                // 000000008DB4: 85153C24
	s_mov_b64 exec, s[20:21]                                   // 000000008DB8: BEFE0114
	global_atomic_add_f32 v6, v114, s[8:9] offset:8            // 000000008DBC: DD348008 00087206
	global_atomic_add_f32 v6, v118, s[8:9] offset:264          // 000000008DC4: DD348108 00087606
	s_mov_b64 exec, s[36:37]                                   // 000000008DCC: BEFE0124
	v_mov_b32_e32 v6, v51                                      // 000000008DD0: 7E0C0333
	s_mov_b64 s[60:61], 0                                      // 000000008DD4: BEBC0180
	v_readlane_b32 s82, v3, 14                                 // 000000008DD8: D2890052 00011D03
	s_and_b32 s82, s82, 0xffffff                               // 000000008DE0: 8652FF52 00FFFFFF
	s_cmp_lt_u32 s82, s66                                      // 000000008DE8: BF0A4252
	s_cselect_b32 s20, s36, s60                                // 000000008DEC: 85143C24
	v_readlane_b32 s82, v3, 15                                 // 000000008DF0: D2890052 00011F03
	s_and_b32 s82, s82, 0xffffff                               // 000000008DF8: 8652FF52 00FFFFFF
	s_cmp_lt_u32 s82, s66                                      // 000000008E00: BF0A4252
	s_cselect_b32 s21, s36, s60                                // 000000008E04: 85153C24
	s_mov_b64 exec, s[20:21]                                   // 000000008E08: BEFE0114
	global_atomic_add_f32 v6, v115, s[8:9] offset:8            // 000000008E0C: DD348008 00087306
	global_atomic_add_f32 v6, v119, s[8:9] offset:264          // 000000008E14: DD348108 00087706
	s_mov_b64 exec, s[36:37]                                   // 000000008E1C: BEFE0124
	s_branch label_190C                                        // 000000008E20: BF820000

0000000000008e24 <label_190C>:
	s_waitcnt vmcnt(0) expcnt(0) lgkmcnt(0)                    // 000000008E24: BF8C0000
	s_endpgm                                                   // 000000008E28: BF810000
